;; amdgpu-corpus repo=ROCm/rocFFT kind=compiled arch=gfx950 opt=O3
	.text
	.amdgcn_target "amdgcn-amd-amdhsa--gfx950"
	.amdhsa_code_object_version 6
	.protected	bluestein_single_back_len308_dim1_sp_op_CI_CI ; -- Begin function bluestein_single_back_len308_dim1_sp_op_CI_CI
	.globl	bluestein_single_back_len308_dim1_sp_op_CI_CI
	.p2align	8
	.type	bluestein_single_back_len308_dim1_sp_op_CI_CI,@function
bluestein_single_back_len308_dim1_sp_op_CI_CI: ; @bluestein_single_back_len308_dim1_sp_op_CI_CI
; %bb.0:
	s_load_dwordx4 s[8:11], s[0:1], 0x28
	v_mul_u32_u24_e32 v1, 0x5d2, v0
	v_add_u32_sdwa v42, s2, v1 dst_sel:DWORD dst_unused:UNUSED_PAD src0_sel:DWORD src1_sel:WORD_1
	v_mov_b32_e32 v43, 0
	s_waitcnt lgkmcnt(0)
	v_cmp_gt_u64_e32 vcc, s[8:9], v[42:43]
	s_and_saveexec_b64 s[2:3], vcc
	s_cbranch_execz .LBB0_23
; %bb.1:
	s_load_dwordx2 s[8:9], s[0:1], 0x0
	s_load_dwordx2 s[12:13], s[0:1], 0x38
	v_mov_b32_e32 v2, 44
	v_mul_lo_u16_sdwa v1, v1, v2 dst_sel:DWORD dst_unused:UNUSED_PAD src0_sel:WORD_1 src1_sel:DWORD
	v_sub_u16_e32 v132, v0, v1
	v_cmp_gt_u16_e32 vcc, 28, v132
	v_lshlrev_b32_e32 v43, 3, v132
	s_and_saveexec_b64 s[2:3], vcc
	s_cbranch_execz .LBB0_3
; %bb.2:
	s_load_dwordx2 s[4:5], s[0:1], 0x18
	v_mov_b32_e32 v0, s10
	v_mov_b32_e32 v1, s11
	;; [unrolled: 1-line block ×3, first 2 shown]
	v_or_b32_e32 v39, 0xe0, v132
	s_waitcnt lgkmcnt(0)
	s_load_dwordx4 s[4:7], s[4:5], 0x0
	s_waitcnt lgkmcnt(0)
	v_mad_u64_u32 v[2:3], s[10:11], s6, v42, 0
	v_mad_u64_u32 v[4:5], s[10:11], s4, v132, 0
	v_mov_b32_e32 v6, v3
	v_mov_b32_e32 v8, v5
	v_mad_u64_u32 v[6:7], s[6:7], s7, v42, v[6:7]
	v_mov_b32_e32 v3, v6
	v_mad_u64_u32 v[6:7], s[6:7], s5, v132, v[8:9]
	v_mov_b32_e32 v5, v6
	v_lshl_add_u64 v[0:1], v[2:3], 3, v[0:1]
	v_lshl_add_u64 v[2:3], v[4:5], 3, v[0:1]
	global_load_dwordx2 v[4:5], v[2:3], off
	v_mad_u64_u32 v[2:3], s[6:7], s4, v44, v[2:3]
	s_mul_i32 s10, s5, 0xe0
	v_add_u32_e32 v3, s10, v3
	v_mad_u64_u32 v[6:7], s[6:7], s4, v44, v[2:3]
	v_add_u32_e32 v7, s10, v7
	v_mad_u64_u32 v[8:9], s[6:7], s4, v44, v[6:7]
	;; [unrolled: 2-line block ×3, first 2 shown]
	v_add_u32_e32 v19, s10, v19
	global_load_dwordx2 v[10:11], v43, s[8:9]
	global_load_dwordx2 v[12:13], v43, s[8:9] offset:224
	global_load_dwordx2 v[14:15], v43, s[8:9] offset:448
	;; [unrolled: 1-line block ×3, first 2 shown]
	global_load_dwordx2 v[20:21], v[2:3], off
	global_load_dwordx2 v[22:23], v[6:7], off
	;; [unrolled: 1-line block ×4, first 2 shown]
	v_mad_u64_u32 v[2:3], s[6:7], s4, v44, v[18:19]
	v_add_u32_e32 v3, s10, v3
	global_load_dwordx2 v[6:7], v[2:3], off
	v_mad_u64_u32 v[2:3], s[6:7], s4, v44, v[2:3]
	v_add_u32_e32 v3, s10, v3
	v_mad_u64_u32 v[36:37], s[6:7], s4, v39, 0
	global_load_dwordx2 v[8:9], v[2:3], off
	v_mad_u64_u32 v[2:3], s[6:7], s4, v44, v[2:3]
	global_load_dwordx2 v[18:19], v43, s[8:9] offset:896
	v_mov_b32_e32 v38, v37
	v_add_u32_e32 v3, s10, v3
	v_mad_u64_u32 v[38:39], s[6:7], s5, v39, v[38:39]
	global_load_dwordx2 v[28:29], v[2:3], off
	global_load_dwordx2 v[30:31], v43, s[8:9] offset:1120
	global_load_dwordx2 v[32:33], v43, s[8:9] offset:1344
	;; [unrolled: 1-line block ×3, first 2 shown]
	v_mov_b32_e32 v37, v38
	v_lshl_add_u64 v[0:1], v[36:37], 3, v[0:1]
	v_mov_b32_e32 v36, 0x1c0
	global_load_dwordx2 v[0:1], v[0:1], off
	v_mad_u64_u32 v[2:3], s[6:7], s4, v36, v[2:3]
	global_load_dwordx2 v[36:37], v43, s[8:9] offset:1792
	s_mulk_i32 s5, 0x1c0
	v_add_u32_e32 v3, s5, v3
	global_load_dwordx2 v[38:39], v[2:3], off
	global_load_dwordx2 v[40:41], v43, s[8:9] offset:2016
	v_mad_u64_u32 v[2:3], s[4:5], s4, v44, v[2:3]
	v_add_u32_e32 v3, s10, v3
	global_load_dwordx2 v[44:45], v43, s[8:9] offset:2240
	global_load_dwordx2 v[46:47], v[2:3], off
	s_waitcnt vmcnt(20)
	v_mul_f32_e32 v2, v5, v11
	v_mul_f32_e32 v3, v4, v11
	v_fmac_f32_e32 v2, v4, v10
	v_fma_f32 v3, v5, v10, -v3
	s_waitcnt vmcnt(16)
	v_mul_f32_e32 v4, v21, v13
	v_mul_f32_e32 v5, v20, v13
	v_fmac_f32_e32 v4, v20, v12
	v_fma_f32 v5, v21, v12, -v5
	ds_write2_b64 v43, v[2:3], v[4:5] offset1:28
	s_waitcnt vmcnt(15)
	v_mul_f32_e32 v2, v23, v15
	v_mul_f32_e32 v3, v22, v15
	s_waitcnt vmcnt(14)
	v_mul_f32_e32 v4, v25, v17
	v_mul_f32_e32 v5, v24, v17
	v_fmac_f32_e32 v2, v22, v14
	v_fma_f32 v3, v23, v14, -v3
	v_fmac_f32_e32 v4, v24, v16
	v_fma_f32 v5, v25, v16, -v5
	ds_write2_b64 v43, v[2:3], v[4:5] offset0:56 offset1:84
	s_waitcnt vmcnt(10)
	v_mul_f32_e32 v2, v27, v19
	v_mul_f32_e32 v3, v26, v19
	s_waitcnt vmcnt(8)
	v_mul_f32_e32 v4, v7, v31
	v_mul_f32_e32 v5, v6, v31
	v_fmac_f32_e32 v2, v26, v18
	v_fma_f32 v3, v27, v18, -v3
	v_fmac_f32_e32 v4, v6, v30
	v_fma_f32 v5, v7, v30, -v5
	ds_write2_b64 v43, v[2:3], v[4:5] offset0:112 offset1:140
	;; [unrolled: 11-line block ×3, first 2 shown]
	s_waitcnt vmcnt(4)
	v_mul_f32_e32 v2, v1, v37
	v_fmac_f32_e32 v2, v0, v36
	v_mul_f32_e32 v0, v0, v37
	v_fma_f32 v3, v1, v36, -v0
	s_waitcnt vmcnt(2)
	v_mul_f32_e32 v0, v39, v41
	v_mul_f32_e32 v1, v38, v41
	v_fmac_f32_e32 v0, v38, v40
	v_fma_f32 v1, v39, v40, -v1
	ds_write2_b64 v43, v[2:3], v[0:1] offset0:224 offset1:252
	s_waitcnt vmcnt(0)
	v_mul_f32_e32 v0, v47, v45
	v_mul_f32_e32 v1, v46, v45
	v_fmac_f32_e32 v0, v46, v44
	v_fma_f32 v1, v47, v44, -v1
	ds_write_b64 v43, v[0:1] offset:2240
.LBB0_3:
	s_or_b64 exec, exec, s[2:3]
	s_load_dwordx2 s[2:3], s[0:1], 0x20
	s_load_dwordx2 s[10:11], s[0:1], 0x8
	v_mov_b64_e32 v[0:1], 0
	s_waitcnt lgkmcnt(0)
	; wave barrier
	s_waitcnt lgkmcnt(0)
                                        ; implicit-def: $vgpr8
                                        ; implicit-def: $vgpr18
                                        ; implicit-def: $vgpr4
                                        ; implicit-def: $vgpr22
                                        ; implicit-def: $vgpr32
	s_and_saveexec_b64 s[0:1], vcc
	s_cbranch_execz .LBB0_5
; %bb.4:
	ds_read2_b64 v[0:3], v43 offset1:28
	ds_read2_b64 v[20:23], v43 offset0:56 offset1:84
	ds_read2_b64 v[16:19], v43 offset0:112 offset1:140
	;; [unrolled: 1-line block ×4, first 2 shown]
	ds_read_b64 v[32:33], v43 offset:2240
.LBB0_5:
	s_or_b64 exec, exec, s[0:1]
	s_waitcnt lgkmcnt(0)
	v_pk_add_f32 v[50:51], v[2:3], v[32:33] neg_lo:[0,1] neg_hi:[0,1]
	s_mov_b32 s26, 0xbf68dda4
	v_pk_add_f32 v[30:31], v[32:33], v[2:3]
	v_pk_add_f32 v[52:53], v[20:21], v[6:7] neg_lo:[0,1] neg_hi:[0,1]
	s_mov_b32 s0, 0x3ed4b147
	v_pk_mul_f32 v[12:13], v[50:51], s[26:27] op_sel:[1,0] op_sel_hi:[0,0]
	s_mov_b32 s18, 0xbf4178ce
	v_pk_add_f32 v[28:29], v[6:7], v[20:21]
	v_pk_fma_f32 v[40:41], v[30:31], s[0:1], v[12:13] op_sel_hi:[1,0,1]
	v_pk_fma_f32 v[46:47], v[30:31], s[0:1], v[12:13] op_sel_hi:[1,0,1] neg_lo:[0,0,1] neg_hi:[0,0,1]
	s_mov_b32 s14, 0xbf27a4f4
	v_pk_mul_f32 v[26:27], v[52:53], s[18:19] op_sel:[1,0] op_sel_hi:[0,0]
	v_mov_b32_e32 v12, v40
	v_mov_b32_e32 v13, v47
	s_mov_b32 s6, 0xbf7d64f0
	v_pk_fma_f32 v[60:61], v[28:29], s[14:15], v[26:27] op_sel_hi:[1,0,1]
	v_pk_fma_f32 v[62:63], v[28:29], s[14:15], v[26:27] op_sel_hi:[1,0,1] neg_lo:[0,0,1] neg_hi:[0,0,1]
	v_pk_add_f32 v[12:13], v[12:13], v[0:1]
	s_mov_b32 s4, 0xbe11bafb
	v_pk_mul_f32 v[14:15], v[50:51], s[6:7] op_sel:[1,0] op_sel_hi:[0,0]
	v_mov_b32_e32 v26, v60
	v_mov_b32_e32 v27, v63
	s_mov_b32 s20, 0x3e903f40
	v_pk_fma_f32 v[36:37], v[30:31], s[4:5], v[14:15] op_sel_hi:[1,0,1]
	v_pk_fma_f32 v[38:39], v[30:31], s[4:5], v[14:15] op_sel_hi:[1,0,1] neg_lo:[0,0,1] neg_hi:[0,0,1]
	v_pk_add_f32 v[12:13], v[26:27], v[12:13]
	s_mov_b32 s16, 0xbf75a155
	v_pk_mul_f32 v[26:27], v[52:53], s[20:21] op_sel:[1,0] op_sel_hi:[0,0]
	v_mov_b32_e32 v14, v36
	v_mov_b32_e32 v15, v39
	v_pk_fma_f32 v[56:57], v[28:29], s[16:17], v[26:27] op_sel_hi:[1,0,1]
	v_pk_fma_f32 v[58:59], v[28:29], s[16:17], v[26:27] op_sel_hi:[1,0,1] neg_lo:[0,0,1] neg_hi:[0,0,1]
	v_pk_add_f32 v[54:55], v[22:23], v[4:5] neg_lo:[0,1] neg_hi:[0,1]
	v_pk_add_f32 v[14:15], v[14:15], v[0:1]
	v_mov_b32_e32 v26, v56
	v_mov_b32_e32 v27, v59
	v_pk_add_f32 v[24:25], v[4:5], v[22:23]
	v_pk_add_f32 v[14:15], v[26:27], v[14:15]
	v_pk_mul_f32 v[26:27], v[54:55], s[20:21] op_sel:[1,0] op_sel_hi:[0,0]
	v_pk_fma_f32 v[68:69], v[24:25], s[16:17], v[26:27] op_sel_hi:[1,0,1]
	v_pk_fma_f32 v[70:71], v[24:25], s[16:17], v[26:27] op_sel_hi:[1,0,1] neg_lo:[0,0,1] neg_hi:[0,0,1]
	v_mov_b32_e32 v26, v68
	v_mov_b32_e32 v27, v71
	s_mov_b32 s20, 0x3f68dda4
	v_pk_add_f32 v[12:13], v[26:27], v[12:13]
	v_pk_mul_f32 v[26:27], v[54:55], s[20:21] op_sel:[1,0] op_sel_hi:[0,0]
	v_pk_fma_f32 v[64:65], v[24:25], s[0:1], v[26:27] op_sel_hi:[1,0,1]
	v_pk_fma_f32 v[66:67], v[24:25], s[0:1], v[26:27] op_sel_hi:[1,0,1] neg_lo:[0,0,1] neg_hi:[0,0,1]
	v_mov_b32_e32 v26, v64
	v_mov_b32_e32 v27, v67
	s_mov_b32 s30, 0x3f7d64f0
	v_pk_add_f32 v[88:89], v[16:17], v[10:11] neg_lo:[0,1] neg_hi:[0,1]
	v_pk_add_f32 v[14:15], v[26:27], v[14:15]
	v_pk_add_f32 v[34:35], v[10:11], v[16:17]
	v_pk_mul_f32 v[26:27], v[88:89], s[30:31] op_sel:[1,0] op_sel_hi:[0,0]
	v_pk_fma_f32 v[76:77], v[34:35], s[4:5], v[26:27] op_sel_hi:[1,0,1]
	v_pk_fma_f32 v[78:79], v[34:35], s[4:5], v[26:27] op_sel_hi:[1,0,1] neg_lo:[0,0,1] neg_hi:[0,0,1]
	v_mov_b32_e32 v26, v76
	v_mov_b32_e32 v27, v79
	s_mov_b32 s34, 0xbf0a6770
	v_pk_add_f32 v[12:13], v[26:27], v[12:13]
	s_mov_b32 s22, 0x3f575c64
	v_pk_mul_f32 v[26:27], v[88:89], s[34:35] op_sel:[1,0] op_sel_hi:[0,0]
	v_pk_fma_f32 v[72:73], v[34:35], s[22:23], v[26:27] op_sel_hi:[1,0,1]
	v_pk_fma_f32 v[74:75], v[34:35], s[22:23], v[26:27] op_sel_hi:[1,0,1] neg_lo:[0,0,1] neg_hi:[0,0,1]
	v_mov_b32_e32 v26, v72
	v_mov_b32_e32 v27, v75
	s_mov_b32 s24, 0x3f0a6770
	v_pk_add_f32 v[110:111], v[18:19], v[8:9] neg_lo:[0,1] neg_hi:[0,1]
	v_pk_add_f32 v[26:27], v[26:27], v[14:15]
	v_pk_add_f32 v[48:49], v[8:9], v[18:19]
	v_pk_mul_f32 v[14:15], v[110:111], s[24:25] op_sel:[1,0] op_sel_hi:[0,0]
	v_pk_fma_f32 v[84:85], v[48:49], s[22:23], v[14:15] op_sel_hi:[1,0,1]
	v_pk_fma_f32 v[86:87], v[48:49], s[22:23], v[14:15] op_sel_hi:[1,0,1] neg_lo:[0,0,1] neg_hi:[0,0,1]
	v_mov_b32_e32 v14, v84
	v_mov_b32_e32 v15, v87
	v_pk_add_f32 v[14:15], v[14:15], v[12:13]
	v_pk_mul_f32 v[12:13], v[110:111], s[18:19] op_sel:[1,0] op_sel_hi:[0,0]
	v_pk_fma_f32 v[80:81], v[48:49], s[14:15], v[12:13] op_sel_hi:[1,0,1]
	v_pk_fma_f32 v[82:83], v[48:49], s[14:15], v[12:13] op_sel_hi:[1,0,1] neg_lo:[0,0,1] neg_hi:[0,0,1]
	v_mov_b32_e32 v12, v80
	v_mov_b32_e32 v13, v83
	v_pk_add_f32 v[12:13], v[12:13], v[26:27]
	v_pk_mul_f32 v[26:27], v[50:51], s[34:35] op_sel:[1,0] op_sel_hi:[0,0]
	v_pk_fma_f32 v[112:113], v[30:31], s[22:23], v[26:27] op_sel_hi:[1,0,1]
	v_pk_fma_f32 v[114:115], v[30:31], s[22:23], v[26:27] op_sel_hi:[1,0,1] neg_lo:[0,0,1] neg_hi:[0,0,1]
	v_pk_mul_f32 v[44:45], v[52:53], s[26:27] op_sel:[1,0] op_sel_hi:[0,0]
	v_mov_b32_e32 v26, v112
	v_mov_b32_e32 v27, v115
	v_pk_fma_f32 v[116:117], v[28:29], s[0:1], v[44:45] op_sel_hi:[1,0,1]
	v_pk_fma_f32 v[118:119], v[28:29], s[0:1], v[44:45] op_sel_hi:[1,0,1] neg_lo:[0,0,1] neg_hi:[0,0,1]
	v_pk_add_f32 v[26:27], v[26:27], v[0:1]
	v_mov_b32_e32 v44, v116
	v_mov_b32_e32 v45, v119
	v_pk_add_f32 v[26:27], v[44:45], v[26:27]
	v_pk_mul_f32 v[44:45], v[54:55], s[6:7] op_sel:[1,0] op_sel_hi:[0,0]
	v_pk_fma_f32 v[120:121], v[24:25], s[4:5], v[44:45] op_sel_hi:[1,0,1]
	v_pk_fma_f32 v[122:123], v[24:25], s[4:5], v[44:45] op_sel_hi:[1,0,1] neg_lo:[0,0,1] neg_hi:[0,0,1]
	v_mov_b32_e32 v44, v120
	v_mov_b32_e32 v45, v123
	v_pk_add_f32 v[26:27], v[44:45], v[26:27]
	v_pk_mul_f32 v[44:45], v[88:89], s[18:19] op_sel:[1,0] op_sel_hi:[0,0]
	v_pk_fma_f32 v[124:125], v[34:35], s[14:15], v[44:45] op_sel_hi:[1,0,1]
	v_pk_fma_f32 v[126:127], v[34:35], s[14:15], v[44:45] op_sel_hi:[1,0,1] neg_lo:[0,0,1] neg_hi:[0,0,1]
	v_mov_b32_e32 v44, v124
	v_mov_b32_e32 v45, v127
	s_mov_b32 s28, 0xbe903f40
	v_pk_add_f32 v[26:27], v[44:45], v[26:27]
	v_pk_mul_f32 v[44:45], v[110:111], s[28:29] op_sel:[1,0] op_sel_hi:[0,0]
	v_pk_fma_f32 v[128:129], v[48:49], s[16:17], v[44:45] op_sel_hi:[1,0,1]
	v_pk_fma_f32 v[130:131], v[48:49], s[16:17], v[44:45] op_sel_hi:[1,0,1] neg_lo:[0,0,1] neg_hi:[0,0,1]
	v_mov_b32_e32 v44, v128
	v_mov_b32_e32 v45, v131
	v_pk_add_f32 v[44:45], v[44:45], v[26:27]
	v_pk_mul_f32 v[26:27], v[50:51], s[18:19] op_sel:[1,0] op_sel_hi:[0,0]
	v_pk_fma_f32 v[90:91], v[30:31], s[14:15], v[26:27] op_sel_hi:[1,0,1]
	v_pk_fma_f32 v[92:93], v[30:31], s[14:15], v[26:27] op_sel_hi:[1,0,1] neg_lo:[0,0,1] neg_hi:[0,0,1]
	v_pk_mul_f32 v[96:97], v[52:53], s[30:31] op_sel:[1,0] op_sel_hi:[0,0]
	v_mov_b32_e32 v26, v90
	v_mov_b32_e32 v27, v93
	v_pk_fma_f32 v[94:95], v[28:29], s[4:5], v[96:97] op_sel_hi:[1,0,1]
	v_pk_fma_f32 v[96:97], v[28:29], s[4:5], v[96:97] op_sel_hi:[1,0,1] neg_lo:[0,0,1] neg_hi:[0,0,1]
	v_mov_b32_e32 v98, v94
	v_mov_b32_e32 v99, v97
	v_pk_add_f32 v[26:27], v[26:27], v[0:1]
	v_pk_mul_f32 v[100:101], v[54:55], s[34:35] op_sel:[1,0] op_sel_hi:[0,0]
	v_pk_add_f32 v[26:27], v[98:99], v[26:27]
	v_pk_fma_f32 v[98:99], v[24:25], s[22:23], v[100:101] op_sel_hi:[1,0,1]
	v_pk_fma_f32 v[100:101], v[24:25], s[22:23], v[100:101] op_sel_hi:[1,0,1] neg_lo:[0,0,1] neg_hi:[0,0,1]
	v_mov_b32_e32 v102, v98
	v_mov_b32_e32 v103, v101
	v_pk_mul_f32 v[104:105], v[88:89], s[28:29] op_sel:[1,0] op_sel_hi:[0,0]
	v_pk_add_f32 v[26:27], v[102:103], v[26:27]
	v_pk_fma_f32 v[102:103], v[34:35], s[16:17], v[104:105] op_sel_hi:[1,0,1]
	v_pk_fma_f32 v[104:105], v[34:35], s[16:17], v[104:105] op_sel_hi:[1,0,1] neg_lo:[0,0,1] neg_hi:[0,0,1]
	v_mov_b32_e32 v106, v102
	v_mov_b32_e32 v107, v105
	;; [unrolled: 6-line block ×3, first 2 shown]
	v_pk_add_f32 v[26:27], v[134:135], v[26:27]
	v_mul_lo_u16_e32 v94, 11, v132
	s_waitcnt lgkmcnt(0)
	; wave barrier
	s_and_saveexec_b64 s[26:27], vcc
	s_cbranch_execz .LBB0_7
; %bb.6:
	v_pk_add_f32 v[2:3], v[2:3], v[0:1]
	v_mov_b32_e32 v115, v113
	v_pk_add_f32 v[2:3], v[20:21], v[2:3]
	v_mov_b32_e32 v119, v117
	;; [unrolled: 2-line block ×5, first 2 shown]
	v_pk_add_f32 v[2:3], v[8:9], v[2:3]
	v_lshlrev_b32_e32 v36, 3, v94
	v_pk_add_f32 v[2:3], v[10:11], v[2:3]
	v_mov_b32_e32 v47, v41
	v_pk_add_f32 v[2:3], v[4:5], v[2:3]
	v_pk_add_f32 v[4:5], v[114:115], v[0:1]
	v_pk_add_f32 v[2:3], v[6:7], v[2:3]
	v_pk_add_f32 v[4:5], v[118:119], v[4:5]
	v_pk_add_f32 v[2:3], v[32:33], v[2:3]
	v_pk_add_f32 v[4:5], v[122:123], v[4:5]
	v_mov_b32_e32 v39, v37
	v_pk_add_f32 v[4:5], v[126:127], v[4:5]
	v_mov_b32_e32 v63, v61
	v_pk_add_f32 v[4:5], v[130:131], v[4:5]
	ds_write2_b64 v36, v[2:3], v[4:5] offset1:1
	v_pk_add_f32 v[2:3], v[46:47], v[0:1]
	v_pk_add_f32 v[4:5], v[38:39], v[0:1]
	v_mov_b32_e32 v59, v57
	v_pk_add_f32 v[2:3], v[62:63], v[2:3]
	v_mov_b32_e32 v71, v69
	;; [unrolled: 2-line block ×7, first 2 shown]
	v_mov_b32_e32 v8, v51
	v_mov_b32_e32 v9, v50
	v_pk_add_f32 v[2:3], v[86:87], v[2:3]
	v_pk_add_f32 v[4:5], v[82:83], v[4:5]
	v_mov_b32_e32 v10, v53
	v_mov_b32_e32 v11, v52
	v_mov_b32_e32 v18, v89
	v_mov_b32_e32 v19, v88
	ds_write2_b64 v36, v[2:3], v[4:5] offset0:2 offset1:3
	v_pk_mul_f32 v[4:5], v[8:9], s[28:29] op_sel_hi:[1,0]
	v_mov_b32_e32 v16, v55
	v_mov_b32_e32 v17, v54
	;; [unrolled: 1-line block ×4, first 2 shown]
	v_pk_mul_f32 v[6:7], v[10:11], s[24:25] op_sel_hi:[1,0]
	v_pk_mul_f32 v[10:11], v[18:19], s[20:21] op_sel_hi:[1,0]
	v_pk_fma_f32 v[18:19], v[30:31], s[16:17], v[4:5] op_sel_hi:[1,0,1] neg_lo:[0,0,1] neg_hi:[0,0,1]
	v_pk_fma_f32 v[4:5], v[30:31], s[16:17], v[4:5] op_sel_hi:[1,0,1]
	v_pk_mul_f32 v[8:9], v[16:17], s[18:19] op_sel_hi:[1,0]
	v_pk_mul_f32 v[16:17], v[20:21], s[6:7] op_sel_hi:[1,0]
	v_mov_b32_e32 v20, v18
	v_mov_b32_e32 v21, v5
	v_pk_fma_f32 v[22:23], v[28:29], s[22:23], v[6:7] op_sel_hi:[1,0,1] neg_lo:[0,0,1] neg_hi:[0,0,1]
	v_pk_fma_f32 v[6:7], v[28:29], s[22:23], v[6:7] op_sel_hi:[1,0,1]
	v_pk_add_f32 v[20:21], v[20:21], v[0:1]
	v_mov_b32_e32 v28, v22
	v_mov_b32_e32 v29, v7
	v_pk_add_f32 v[20:21], v[28:29], v[20:21]
	v_pk_fma_f32 v[28:29], v[24:25], s[14:15], v[8:9] op_sel_hi:[1,0,1] neg_lo:[0,0,1] neg_hi:[0,0,1]
	v_pk_fma_f32 v[8:9], v[24:25], s[14:15], v[8:9] op_sel_hi:[1,0,1]
	v_mov_b32_e32 v93, v91
	v_mov_b32_e32 v24, v28
	;; [unrolled: 1-line block ×4, first 2 shown]
	v_pk_add_f32 v[2:3], v[92:93], v[0:1]
	v_mov_b32_e32 v97, v95
	v_pk_add_f32 v[20:21], v[24:25], v[20:21]
	v_pk_fma_f32 v[24:25], v[34:35], s[0:1], v[10:11] op_sel_hi:[1,0,1] neg_lo:[0,0,1] neg_hi:[0,0,1]
	v_pk_fma_f32 v[10:11], v[34:35], s[0:1], v[10:11] op_sel_hi:[1,0,1]
	v_pk_add_f32 v[0:1], v[4:5], v[0:1]
	v_mov_b32_e32 v7, v23
	v_pk_add_f32 v[2:3], v[96:97], v[2:3]
	v_mov_b32_e32 v101, v99
	v_mov_b32_e32 v30, v24
	;; [unrolled: 1-line block ×3, first 2 shown]
	v_pk_add_f32 v[0:1], v[6:7], v[0:1]
	v_mov_b32_e32 v9, v29
	v_pk_add_f32 v[2:3], v[100:101], v[2:3]
	v_mov_b32_e32 v105, v103
	v_pk_add_f32 v[20:21], v[30:31], v[20:21]
	v_pk_fma_f32 v[30:31], v[48:49], s[4:5], v[16:17] op_sel_hi:[1,0,1] neg_lo:[0,0,1] neg_hi:[0,0,1]
	v_pk_fma_f32 v[16:17], v[48:49], s[4:5], v[16:17] op_sel_hi:[1,0,1]
	v_pk_add_f32 v[0:1], v[8:9], v[0:1]
	v_mov_b32_e32 v11, v25
	v_pk_add_f32 v[2:3], v[104:105], v[2:3]
	v_mov_b32_e32 v109, v107
	v_mov_b32_e32 v32, v30
	;; [unrolled: 1-line block ×3, first 2 shown]
	v_pk_add_f32 v[0:1], v[10:11], v[0:1]
	v_mov_b32_e32 v17, v31
	v_pk_add_f32 v[2:3], v[108:109], v[2:3]
	v_pk_add_f32 v[20:21], v[32:33], v[20:21]
	v_pk_add_f32 v[0:1], v[16:17], v[0:1]
	ds_write2_b64 v36, v[2:3], v[20:21] offset0:4 offset1:5
	ds_write2_b64 v36, v[0:1], v[26:27] offset0:6 offset1:7
	;; [unrolled: 1-line block ×3, first 2 shown]
	ds_write_b64 v36, v[44:45] offset:80
.LBB0_7:
	s_or_b64 exec, exec, s[26:27]
	s_movk_i32 s0, 0x75
	v_mul_lo_u16_sdwa v0, v132, s0 dst_sel:DWORD dst_unused:UNUSED_PAD src0_sel:BYTE_0 src1_sel:DWORD
	v_sub_u16_sdwa v1, v132, v0 dst_sel:DWORD dst_unused:UNUSED_PAD src0_sel:DWORD src1_sel:BYTE_1
	v_lshrrev_b16_e32 v1, 1, v1
	v_and_b32_e32 v1, 0x7f, v1
	v_add_u16_sdwa v0, v1, v0 dst_sel:DWORD dst_unused:UNUSED_PAD src0_sel:DWORD src1_sel:BYTE_1
	v_lshrrev_b16_e32 v34, 3, v0
	v_mul_lo_u16_e32 v0, 11, v34
	v_sub_u16_e32 v0, v132, v0
	v_and_b32_e32 v35, 0xff, v0
	v_mul_u32_u24_e32 v0, 6, v35
	v_lshlrev_b32_e32 v16, 3, v0
	s_load_dwordx4 s[4:7], s[2:3], 0x0
	s_waitcnt lgkmcnt(0)
	; wave barrier
	s_waitcnt lgkmcnt(0)
	global_load_dwordx4 v[4:7], v16, s[10:11] offset:16
	global_load_dwordx4 v[8:11], v16, s[10:11]
	global_load_dwordx4 v[0:3], v16, s[10:11] offset:32
	ds_read2_b64 v[16:19], v43 offset1:44
	ds_read2_b64 v[20:23], v43 offset0:88 offset1:132
	ds_read2_b64 v[28:31], v43 offset0:176 offset1:220
	ds_read_b64 v[24:25], v43 offset:2112
	s_mov_b32 s14, 0xbf08b237
	s_waitcnt lgkmcnt(3)
	v_mov_b32_e32 v33, v18
	s_mov_b32 s15, 0x3eae86e6
	s_waitcnt lgkmcnt(1)
	v_mov_b32_e32 v32, v28
	v_mov_b32_e32 v28, v22
	v_mul_u32_u24_e32 v22, 0x4d, v34
	v_mov_b32_e32 v18, v29
	s_waitcnt lgkmcnt(0)
	v_mov_b32_e32 v29, v24
	v_mov_b32_e32 v24, v23
	v_add_lshl_u32 v90, v22, v35, 3
	s_mov_b32 s18, 0x3f5ff5aa
	s_mov_b32 s16, 0x3d64c772
	;; [unrolled: 1-line block ×5, first 2 shown]
	s_waitcnt lgkmcnt(0)
	; wave barrier
	s_waitcnt vmcnt(2)
	v_mov_b32_e32 v34, v7
	s_waitcnt vmcnt(1)
	v_mov_b32_e32 v35, v9
	v_mov_b32_e32 v38, v5
	s_waitcnt vmcnt(0)
	v_mov_b32_e32 v39, v3
	v_mov_b32_e32 v40, v11
	;; [unrolled: 1-line block ×6, first 2 shown]
	v_pk_mul_f32 v[46:47], v[30:31], v[0:1] op_sel:[0,1]
	v_pk_mul_f32 v[48:49], v[18:19], v[34:35]
	v_pk_mul_f32 v[50:51], v[24:25], v[38:39]
	;; [unrolled: 1-line block ×4, first 2 shown]
	v_pk_mul_f32 v[40:41], v[20:21], v[40:41] op_sel_hi:[1,0]
	v_pk_fma_f32 v[52:53], v[30:31], v[0:1], v[46:47] op_sel:[0,0,1] op_sel_hi:[1,1,0] neg_lo:[0,0,1] neg_hi:[0,0,1]
	v_pk_fma_f32 v[30:31], v[30:31], v[0:1], v[46:47] op_sel:[0,0,1] op_sel_hi:[1,0,0]
	v_pk_fma_f32 v[32:33], v[32:33], v[22:23], v[48:49] neg_lo:[0,0,1] neg_hi:[0,0,1]
	v_pk_fma_f32 v[18:19], v[18:19], v[22:23], v[34:35]
	v_pk_fma_f32 v[22:23], v[24:25], v[36:37], v[38:39]
	v_pk_fma_f32 v[24:25], v[20:21], v[10:11], v[40:41] op_sel:[0,0,1] op_sel_hi:[1,1,0] neg_lo:[0,0,1] neg_hi:[0,0,1]
	v_pk_fma_f32 v[20:21], v[20:21], v[10:11], v[40:41] op_sel:[0,0,1] op_sel_hi:[1,0,0]
	v_pk_fma_f32 v[28:29], v[28:29], v[36:37], v[50:51] neg_lo:[0,0,1] neg_hi:[0,0,1]
	v_mov_b32_e32 v53, v31
	v_mov_b32_e32 v25, v21
	v_pk_add_f32 v[30:31], v[32:33], v[28:29] neg_lo:[0,1] neg_hi:[0,1]
	v_pk_add_f32 v[34:35], v[18:19], v[22:23] neg_lo:[0,1] neg_hi:[0,1]
	v_mov_b32_e32 v20, v33
	v_mov_b32_e32 v21, v19
	;; [unrolled: 1-line block ×6, first 2 shown]
	v_pk_add_f32 v[18:19], v[24:25], v[52:53]
	v_pk_add_f32 v[24:25], v[24:25], v[52:53] neg_lo:[0,1] neg_hi:[0,1]
	v_pk_add_f32 v[20:21], v[20:21], v[36:37]
	v_pk_add_f32 v[22:23], v[28:29], v[32:33]
	v_mov_b32_e32 v29, v30
	v_mov_b32_e32 v32, v31
	;; [unrolled: 1-line block ×4, first 2 shown]
	v_pk_add_f32 v[38:39], v[20:21], v[22:23] neg_lo:[0,1] neg_hi:[0,1]
	v_pk_add_f32 v[40:41], v[18:19], v[20:21]
	v_pk_add_f32 v[46:47], v[22:23], v[18:19] neg_lo:[0,1] neg_hi:[0,1]
	v_pk_add_f32 v[18:19], v[18:19], v[20:21] neg_lo:[0,1] neg_hi:[0,1]
	;; [unrolled: 1-line block ×4, first 2 shown]
	v_pk_mul_f32 v[20:21], v[20:21], s[18:19] op_sel_hi:[1,0]
	v_pk_mul_f32 v[48:49], v[28:29], s[14:15]
	v_mov_b32_e32 v37, v34
	v_mov_b32_e32 v36, v25
	;; [unrolled: 1-line block ×3, first 2 shown]
	v_xor_b32_e32 v51, 0x80000000, v20
	v_mov_b32_e32 v50, v49
	v_pk_add_f32 v[36:37], v[34:35], v[36:37] neg_lo:[0,1] neg_hi:[0,1]
	v_pk_add_f32 v[24:25], v[30:31], v[24:25]
	v_pk_fma_f32 v[30:31], v[28:29], s[14:15], v[50:51]
	v_pk_fma_f32 v[28:29], v[28:29], s[14:15], v[50:51] neg_lo:[1,0,0] neg_hi:[1,0,0]
	v_pk_add_f32 v[22:23], v[22:23], v[40:41]
	v_pk_mul_f32 v[40:41], v[46:47], s[16:17] op_sel_hi:[1,0]
	v_pk_mul_f32 v[46:47], v[18:19], s[2:3] op_sel_hi:[1,0]
	v_mov_b32_e32 v31, v29
	v_pk_mul_f32 v[28:29], v[36:37], s[14:15]
	v_fmamk_f32 v34, v38, 0x3f4a47b2, v40
	v_fma_f32 v35, v38, s1, -v46
	v_mov_b32_e32 v38, v29
	v_pk_add_f32 v[16:17], v[16:17], v[22:23]
	v_pk_add_f32 v[24:25], v[24:25], v[32:33]
	v_fmamk_f32 v32, v39, 0x3f4a47b2, v41
	v_fma_f32 v33, v39, s1, -v47
	v_pk_fma_f32 v[38:39], v[36:37], s[14:15], v[38:39]
	v_pk_fma_f32 v[36:37], v[36:37], s[14:15], v[20:21] neg_lo:[1,0,1] neg_hi:[1,0,1]
	s_mov_b32 s14, 0x3ee1c552
	v_mov_b32_e32 v29, v48
	v_pk_mul_f32 v[24:25], v[24:25], s[14:15] op_sel_hi:[1,0]
	v_pk_fma_f32 v[22:23], v[22:23], s[0:1], v[16:17] op_sel_hi:[1,0,1]
	v_pk_fma_f32 v[18:19], v[18:19], s[2:3], v[40:41] op_sel_hi:[1,0,1] neg_lo:[0,0,1] neg_hi:[0,0,1]
	v_pk_add_f32 v[20:21], v[20:21], v[28:29] op_sel:[1,0] op_sel_hi:[0,1] neg_lo:[0,1] neg_hi:[0,1]
	v_pk_add_f32 v[18:19], v[18:19], v[22:23]
	v_pk_add_f32 v[20:21], v[24:25], v[20:21] op_sel:[1,0] op_sel_hi:[0,1]
	v_mov_b32_e32 v39, v37
	v_pk_add_f32 v[34:35], v[34:35], v[22:23] op_sel_hi:[1,0]
	v_pk_add_f32 v[22:23], v[32:33], v[22:23] op_sel:[0,1]
	v_pk_add_f32 v[30:31], v[24:25], v[30:31] op_sel_hi:[0,1]
	v_pk_add_f32 v[36:37], v[18:19], v[20:21]
	v_pk_add_f32 v[18:19], v[18:19], v[20:21] neg_lo:[0,1] neg_hi:[0,1]
	v_pk_add_f32 v[32:33], v[24:25], v[38:39] op_sel:[1,0]
	v_mov_b32_e32 v29, v19
	v_mov_b32_e32 v19, v22
	;; [unrolled: 1-line block ×4, first 2 shown]
	v_pk_add_f32 v[38:39], v[32:33], v[34:35]
	v_pk_add_f32 v[20:21], v[18:19], v[20:21] neg_lo:[0,1] neg_hi:[0,1]
	v_pk_add_f32 v[24:25], v[34:35], v[32:33] neg_lo:[0,1] neg_hi:[0,1]
	v_mov_b32_e32 v39, v21
	ds_write2_b64 v90, v[16:17], v[38:39] offset1:11
	v_mov_b32_e32 v16, v33
	v_mov_b32_e32 v20, v35
	v_pk_add_f32 v[16:17], v[16:17], v[20:21]
	v_pk_add_f32 v[20:21], v[22:23], v[30:31] neg_lo:[0,1] neg_hi:[0,1]
	v_pk_add_f32 v[40:41], v[30:31], v[22:23]
	v_mov_b32_e32 v17, v21
	v_mov_b32_e32 v19, v37
	;; [unrolled: 1-line block ×3, first 2 shown]
	ds_write2_b64 v90, v[16:17], v[18:19] offset0:22 offset1:33
	v_mov_b32_e32 v16, v25
	v_mov_b32_e32 v17, v41
	ds_write2_b64 v90, v[28:29], v[16:17] offset0:44 offset1:55
	v_mov_b32_e32 v16, v24
	v_mov_b32_e32 v17, v40
	ds_write_b64 v90, v[16:17] offset:528
	s_waitcnt lgkmcnt(0)
	; wave barrier
	s_waitcnt lgkmcnt(0)
	ds_read2_b64 v[32:35], v43 offset1:77
	ds_read2_b64 v[36:39], v43 offset0:154 offset1:231
	v_cmp_gt_u16_e64 s[0:1], 33, v132
	v_cmp_lt_u16_e64 s[2:3], 32, v132
	s_and_saveexec_b64 s[14:15], s[2:3]
	s_xor_b64 s[14:15], exec, s[14:15]
	s_andn2_saveexec_b64 s[14:15], s[14:15]
	s_cbranch_execz .LBB0_9
; %bb.8:
	v_add_u32_e32 v16, 0x400, v43
	ds_read2_b64 v[28:31], v43 offset0:44 offset1:121
	ds_read2_b64 v[24:27], v16 offset0:70 offset1:147
	s_waitcnt lgkmcnt(1)
	v_mov_b32_e32 v41, v31
	s_waitcnt lgkmcnt(0)
	v_mov_b32_e32 v40, v25
	v_mov_b32_e32 v25, v30
.LBB0_9:
	s_or_b64 exec, exec, s[14:15]
	v_mad_u64_u32 v[16:17], s[14:15], v132, 24, s[10:11]
	global_load_dwordx4 v[20:23], v[16:17], off offset:528
	global_load_dwordx2 v[48:49], v[16:17], off offset:544
	v_add_u32_e32 v16, 44, v132
	v_subrev_u32_e32 v17, 33, v132
	v_cndmask_b32_e64 v16, v17, v16, s[0:1]
	v_mul_hi_i32_i24_e32 v17, 24, v16
	v_mul_i32_i24_e32 v16, 24, v16
	v_lshl_add_u64 v[30:31], s[10:11], 0, v[16:17]
	global_load_dwordx4 v[16:19], v[30:31], off offset:528
	global_load_dwordx2 v[46:47], v[30:31], off offset:544
	s_waitcnt vmcnt(3)
	v_mov_b32_e32 v30, v21
	s_waitcnt lgkmcnt(1)
	v_pk_mul_f32 v[50:51], v[34:35], v[20:21] op_sel:[1,0] op_sel_hi:[0,1]
	v_mov_b32_e32 v52, v23
	s_waitcnt lgkmcnt(0)
	v_pk_mul_f32 v[54:55], v[36:37], v[22:23] op_sel:[1,0] op_sel_hi:[0,1]
	s_waitcnt vmcnt(2)
	v_mov_b32_e32 v56, v49
	v_pk_mul_f32 v[58:59], v[38:39], v[48:49] op_sel:[1,0] op_sel_hi:[0,1]
	v_pk_mul_f32 v[30:31], v[34:35], v[30:31] op_sel:[1,0] op_sel_hi:[0,1]
	v_mov_b32_e32 v51, v50
	v_pk_mul_f32 v[52:53], v[36:37], v[52:53] op_sel:[1,0] op_sel_hi:[0,1]
	v_mov_b32_e32 v55, v54
	;; [unrolled: 2-line block ×3, first 2 shown]
	v_pk_fma_f32 v[30:31], v[34:35], v[20:21], v[30:31] neg_lo:[0,0,1] neg_hi:[0,0,1]
	v_pk_fma_f32 v[34:35], v[34:35], v[20:21], v[50:51] op_sel:[1,0,0] op_sel_hi:[0,1,1]
	v_pk_fma_f32 v[50:51], v[36:37], v[22:23], v[52:53] neg_lo:[0,0,1] neg_hi:[0,0,1]
	v_pk_fma_f32 v[36:37], v[36:37], v[22:23], v[54:55] op_sel:[1,0,0] op_sel_hi:[0,1,1]
	;; [unrolled: 2-line block ×3, first 2 shown]
	v_mov_b32_e32 v51, v37
	v_mov_b32_e32 v31, v35
	;; [unrolled: 1-line block ×3, first 2 shown]
	s_waitcnt vmcnt(1)
	v_pk_mul_f32 v[34:35], v[24:25], v[16:17] op_sel:[1,0]
	v_pk_mul_f32 v[36:37], v[40:41], v[18:19] op_sel_hi:[0,1]
	s_waitcnt vmcnt(0)
	v_pk_mul_f32 v[38:39], v[26:27], v[46:47] op_sel_hi:[0,1]
	v_pk_add_f32 v[50:51], v[32:33], v[50:51] neg_lo:[0,1] neg_hi:[0,1]
	v_pk_add_f32 v[52:53], v[30:31], v[52:53] neg_lo:[0,1] neg_hi:[0,1]
	v_pk_fma_f32 v[54:55], v[40:41], v[16:17], v[34:35] op_sel:[1,0,1] op_sel_hi:[1,1,0]
	v_pk_fma_f32 v[34:35], v[40:41], v[16:17], v[34:35] op_sel:[1,0,1] op_sel_hi:[1,1,0] neg_lo:[1,0,0] neg_hi:[1,0,0]
	v_pk_fma_f32 v[40:41], v[24:25], v[18:19], v[36:37] op_sel:[0,0,1] op_sel_hi:[1,1,0] neg_lo:[0,0,1] neg_hi:[0,0,1]
	v_pk_fma_f32 v[24:25], v[24:25], v[18:19], v[36:37] op_sel:[0,0,1] op_sel_hi:[0,1,0]
	v_pk_fma_f32 v[36:37], v[26:27], v[46:47], v[38:39] op_sel:[1,0,1] op_sel_hi:[1,1,0]
	v_pk_fma_f32 v[26:27], v[26:27], v[46:47], v[38:39] op_sel:[1,0,1] op_sel_hi:[1,1,0] neg_lo:[1,0,0] neg_hi:[1,0,0]
	v_pk_fma_f32 v[38:39], v[32:33], 2.0, v[50:51] op_sel_hi:[1,0,1] neg_lo:[0,0,1] neg_hi:[0,0,1]
	v_pk_fma_f32 v[30:31], v[30:31], 2.0, v[52:53] op_sel_hi:[1,0,1] neg_lo:[0,0,1] neg_hi:[0,0,1]
	v_mov_b32_e32 v55, v35
	v_mov_b32_e32 v41, v25
	;; [unrolled: 1-line block ×3, first 2 shown]
	v_pk_add_f32 v[32:33], v[50:51], v[52:53] op_sel:[0,1] op_sel_hi:[1,0] neg_lo:[0,1] neg_hi:[0,1]
	v_pk_add_f32 v[24:25], v[50:51], v[52:53] op_sel:[0,1] op_sel_hi:[1,0]
	v_pk_add_f32 v[30:31], v[38:39], v[30:31] neg_lo:[0,1] neg_hi:[0,1]
	v_pk_add_f32 v[40:41], v[28:29], v[40:41] neg_lo:[0,1] neg_hi:[0,1]
	;; [unrolled: 1-line block ×3, first 2 shown]
	v_mov_b32_e32 v33, v25
	v_pk_fma_f32 v[24:25], v[38:39], 2.0, v[30:31] op_sel_hi:[1,0,1] neg_lo:[0,0,1] neg_hi:[0,0,1]
	v_pk_fma_f32 v[28:29], v[28:29], 2.0, v[40:41] op_sel_hi:[1,0,1] neg_lo:[0,0,1] neg_hi:[0,0,1]
	;; [unrolled: 1-line block ×3, first 2 shown]
	v_pk_add_f32 v[36:37], v[40:41], v[26:27] neg_lo:[0,1] neg_hi:[0,1]
	v_pk_add_f32 v[38:39], v[40:41], v[26:27]
	v_pk_add_f32 v[34:35], v[28:29], v[34:35] op_sel:[0,1] op_sel_hi:[1,0] neg_lo:[0,1] neg_hi:[0,1]
	v_mov_b32_e32 v37, v39
	v_pk_fma_f32 v[26:27], v[50:51], 2.0, v[32:33] op_sel_hi:[1,0,1] neg_lo:[0,0,1] neg_hi:[0,0,1]
	v_pk_fma_f32 v[38:39], v[28:29], 2.0, v[34:35] op_sel_hi:[1,0,1] neg_lo:[0,0,1] neg_hi:[0,0,1]
	;; [unrolled: 1-line block ×3, first 2 shown]
	ds_write2_b64 v43, v[24:25], v[26:27] offset1:77
	ds_write2_b64 v43, v[30:31], v[32:33] offset0:154 offset1:231
	s_and_saveexec_b64 s[10:11], s[0:1]
	s_cbranch_execz .LBB0_11
; %bb.10:
	v_add_u32_e32 v28, 0x400, v43
	ds_write2_b64 v43, v[38:39], v[40:41] offset0:44 offset1:121
	ds_write2_b64 v28, v[34:35], v[36:37] offset0:70 offset1:147
.LBB0_11:
	s_or_b64 exec, exec, s[10:11]
	s_waitcnt lgkmcnt(0)
	; wave barrier
	s_waitcnt lgkmcnt(0)
	s_and_saveexec_b64 s[10:11], vcc
	s_cbranch_execz .LBB0_13
; %bb.12:
	global_load_dwordx2 v[28:29], v43, s[8:9] offset:2464
	s_add_u32 s14, s8, 0x9a0
	s_addc_u32 s15, s9, 0
	global_load_dwordx2 v[70:71], v43, s[14:15] offset:224
	global_load_dwordx2 v[72:73], v43, s[14:15] offset:448
	;; [unrolled: 1-line block ×10, first 2 shown]
	ds_read_b64 v[50:51], v43
	v_add_u32_e32 v91, 0x400, v43
	s_waitcnt vmcnt(10) lgkmcnt(0)
	v_mul_f32_e32 v52, v51, v29
	v_mul_f32_e32 v53, v50, v29
	v_fma_f32 v52, v50, v28, -v52
	v_fmac_f32_e32 v53, v51, v28
	ds_write_b64 v43, v[52:53]
	ds_read2_b64 v[50:53], v43 offset0:28 offset1:56
	ds_read2_b64 v[54:57], v43 offset0:84 offset1:112
	;; [unrolled: 1-line block ×5, first 2 shown]
	s_waitcnt vmcnt(9) lgkmcnt(4)
	v_mul_f32_e32 v28, v51, v71
	v_mul_f32_e32 v29, v50, v71
	s_waitcnt vmcnt(8)
	v_mul_f32_e32 v92, v53, v73
	v_mul_f32_e32 v71, v52, v73
	s_waitcnt vmcnt(7) lgkmcnt(3)
	v_mul_f32_e32 v93, v55, v75
	v_mul_f32_e32 v73, v54, v75
	s_waitcnt vmcnt(6)
	v_mul_f32_e32 v95, v57, v77
	v_mul_f32_e32 v75, v56, v77
	;; [unrolled: 6-line block ×5, first 2 shown]
	v_fma_f32 v28, v50, v70, -v28
	v_fmac_f32_e32 v29, v51, v70
	v_fma_f32 v70, v52, v72, -v92
	v_fmac_f32_e32 v71, v53, v72
	;; [unrolled: 2-line block ×10, first 2 shown]
	ds_write2_b64 v43, v[28:29], v[70:71] offset0:28 offset1:56
	ds_write2_b64 v43, v[72:73], v[74:75] offset0:84 offset1:112
	ds_write2_b64 v43, v[76:77], v[78:79] offset0:140 offset1:168
	ds_write2_b64 v43, v[80:81], v[82:83] offset0:196 offset1:224
	ds_write2_b64 v91, v[84:85], v[86:87] offset0:124 offset1:152
.LBB0_13:
	s_or_b64 exec, exec, s[10:11]
	s_waitcnt lgkmcnt(0)
	; wave barrier
	s_waitcnt lgkmcnt(0)
	s_and_saveexec_b64 s[10:11], vcc
	s_cbranch_execz .LBB0_15
; %bb.14:
	ds_read2_b64 v[24:27], v43 offset1:28
	ds_read2_b64 v[30:33], v43 offset0:56 offset1:84
	ds_read2_b64 v[38:41], v43 offset0:112 offset1:140
	;; [unrolled: 1-line block ×4, first 2 shown]
	ds_read_b64 v[44:45], v43 offset:2240
.LBB0_15:
	s_or_b64 exec, exec, s[10:11]
	s_waitcnt lgkmcnt(0)
	v_pk_add_f32 v[28:29], v[26:27], v[44:45] neg_lo:[0,1] neg_hi:[0,1]
	v_pk_add_f32 v[60:61], v[26:27], v[44:45]
	v_mov_b32_e32 v51, v28
	v_mov_b32_e32 v50, v60
	;; [unrolled: 1-line block ×3, first 2 shown]
	v_pk_add_f32 v[28:29], v[30:31], v[14:15] neg_lo:[0,1] neg_hi:[0,1]
	v_pk_add_f32 v[62:63], v[30:31], v[14:15]
	v_mov_b32_e32 v53, v28
	v_mov_b32_e32 v52, v62
	;; [unrolled: 1-line block ×3, first 2 shown]
	v_pk_add_f32 v[28:29], v[32:33], v[12:13] neg_lo:[0,1] neg_hi:[0,1]
	v_pk_add_f32 v[64:65], v[32:33], v[12:13]
	s_mov_b32 s28, 0xbf4178ce
	v_mov_b32_e32 v54, v64
	v_mov_b32_e32 v55, v28
	;; [unrolled: 1-line block ×3, first 2 shown]
	v_pk_add_f32 v[28:29], v[38:39], v[36:37] neg_lo:[0,1] neg_hi:[0,1]
	v_pk_add_f32 v[66:67], v[38:39], v[36:37]
	s_mov_b32 s29, 0xbf27a4f4
	s_mov_b32 s38, 0x3f7d64f0
	v_mov_b32_e32 v56, v66
	v_mov_b32_e32 v57, v28
	;; [unrolled: 1-line block ×3, first 2 shown]
	v_pk_add_f32 v[28:29], v[40:41], v[34:35] neg_lo:[0,1] neg_hi:[0,1]
	v_pk_add_f32 v[68:69], v[40:41], v[34:35]
	v_pk_mul_f32 v[70:71], v[60:61], s[28:29]
	s_mov_b32 s10, s29
	s_mov_b32 s11, s28
	;; [unrolled: 1-line block ×3, first 2 shown]
	v_mov_b32_e32 v58, v68
	v_mov_b32_e32 v59, v28
	v_mov_b32_e32 v68, v29
	v_pk_fma_f32 v[28:29], v[50:51], s[10:11], v[70:71] neg_lo:[0,0,1] neg_hi:[0,0,1]
	v_pk_fma_f32 v[72:73], v[50:51], s[10:11], v[70:71]
	v_pk_mul_f32 v[74:75], v[62:63], s[38:39]
	s_mov_b32 s18, s39
	s_mov_b32 s19, s38
	v_mov_b32_e32 v29, v73
	v_pk_fma_f32 v[78:79], v[52:53], s[18:19], v[74:75] neg_lo:[0,0,1] neg_hi:[0,0,1]
	v_pk_fma_f32 v[76:77], v[52:53], s[18:19], v[74:75]
	s_mov_b32 s40, 0xbf0a6770
	v_pk_add_f32 v[28:29], v[24:25], v[28:29]
	v_mov_b32_e32 v79, v77
	s_mov_b32 s41, 0x3f575c64
	v_pk_add_f32 v[28:29], v[78:79], v[28:29]
	v_pk_mul_f32 v[78:79], v[64:65], s[40:41]
	s_mov_b32 s16, s41
	s_mov_b32 s17, s40
	v_pk_fma_f32 v[82:83], v[54:55], s[16:17], v[78:79] neg_lo:[0,0,1] neg_hi:[0,0,1]
	v_pk_fma_f32 v[80:81], v[54:55], s[16:17], v[78:79]
	s_mov_b32 s30, 0xbe903f40
	v_mov_b32_e32 v83, v81
	s_mov_b32 s31, 0xbf75a155
	v_pk_add_f32 v[28:29], v[82:83], v[28:29]
	v_pk_mul_f32 v[82:83], v[66:67], s[30:31]
	s_mov_b32 s14, s31
	s_mov_b32 s15, s30
	v_pk_fma_f32 v[86:87], v[56:57], s[14:15], v[82:83] neg_lo:[0,0,1] neg_hi:[0,0,1]
	v_pk_fma_f32 v[84:85], v[56:57], s[14:15], v[82:83]
	s_mov_b32 s34, 0x3f68dda4
	v_mov_b32_e32 v87, v85
	s_mov_b32 s35, 0x3ed4b147
	v_pk_add_f32 v[28:29], v[86:87], v[28:29]
	v_pk_mul_f32 v[86:87], v[68:69], s[34:35]
	s_mov_b32 s24, s35
	s_mov_b32 s25, s34
	v_pk_fma_f32 v[92:93], v[58:59], s[24:25], v[86:87] neg_lo:[0,0,1] neg_hi:[0,0,1]
	v_pk_fma_f32 v[88:89], v[58:59], s[24:25], v[86:87]
	s_nop 0
	v_mov_b32_e32 v93, v89
	v_pk_add_f32 v[28:29], v[92:93], v[28:29]
	; wave barrier
	s_and_saveexec_b64 s[20:21], vcc
	s_cbranch_execz .LBB0_17
; %bb.16:
	v_pk_add_f32 v[26:27], v[26:27], v[24:25]
	s_mov_b32 s23, 0xbf68dda4
	v_pk_add_f32 v[26:27], v[30:31], v[26:27]
	s_mov_b32 s36, s23
	;; [unrolled: 2-line block ×4, first 2 shown]
	v_pk_add_f32 v[26:27], v[40:41], v[26:27]
	v_pk_mul_f32 v[30:31], v[62:63], s[36:37]
	v_pk_add_f32 v[26:27], v[34:35], v[26:27]
	s_mov_b32 s27, 0xbf7d64f0
	v_pk_add_f32 v[26:27], v[36:37], v[26:27]
	v_pk_fma_f32 v[36:37], v[52:53], s[22:23], v[30:31] neg_lo:[1,0,0] neg_hi:[1,0,0]
	v_pk_add_f32 v[12:13], v[12:13], v[26:27]
	s_mov_b32 s42, s27
	v_pk_add_f32 v[12:13], v[14:15], v[12:13]
	v_pk_mul_f32 v[14:15], v[60:61], s[40:41]
	v_pk_add_f32 v[32:33], v[44:45], v[12:13]
	v_pk_fma_f32 v[12:13], v[50:51], s[16:17], v[14:15]
	v_pk_fma_f32 v[26:27], v[50:51], s[16:17], v[14:15] neg_lo:[1,0,0] neg_hi:[1,0,0]
	s_mov_b32 s43, s39
	v_mov_b32_e32 v26, v12
	v_pk_add_f32 v[34:35], v[24:25], v[26:27]
	v_pk_fma_f32 v[26:27], v[52:53], s[22:23], v[30:31]
	s_mov_b32 s26, s39
	v_mov_b32_e32 v36, v26
	v_pk_add_f32 v[34:35], v[36:37], v[34:35]
	v_pk_mul_f32 v[36:37], v[64:65], s[42:43]
	v_lshlrev_b32_e32 v91, 3, v94
	v_pk_fma_f32 v[38:39], v[54:55], s[26:27], v[36:37]
	v_pk_fma_f32 v[40:41], v[54:55], s[26:27], v[36:37] neg_lo:[1,0,0] neg_hi:[1,0,0]
	v_pk_mul_f32 v[100:101], v[62:63], s[28:29]
	v_mov_b32_e32 v40, v38
	v_pk_add_f32 v[34:35], v[40:41], v[34:35]
	v_pk_mul_f32 v[40:41], v[66:67], s[28:29]
	v_pk_fma_f32 v[102:103], v[52:53], s[10:11], v[100:101]
	v_pk_fma_f32 v[44:45], v[56:57], s[10:11], v[40:41]
	v_pk_fma_f32 v[94:95], v[56:57], s[10:11], v[40:41] neg_lo:[1,0,0] neg_hi:[1,0,0]
	v_pk_fma_f32 v[104:105], v[52:53], s[10:11], v[100:101] neg_lo:[1,0,0] neg_hi:[1,0,0]
	v_mov_b32_e32 v94, v44
	v_pk_add_f32 v[34:35], v[94:95], v[34:35]
	v_pk_mul_f32 v[94:95], v[68:69], s[30:31]
	v_mov_b32_e32 v104, v102
	v_pk_fma_f32 v[96:97], v[58:59], s[14:15], v[94:95]
	v_pk_fma_f32 v[98:99], v[58:59], s[14:15], v[94:95] neg_lo:[1,0,0] neg_hi:[1,0,0]
	s_mov_b32 s45, s31
	v_mov_b32_e32 v98, v96
	v_pk_add_f32 v[34:35], v[98:99], v[34:35]
	ds_write2_b64 v91, v[32:33], v[34:35] offset1:1
	v_pk_mul_f32 v[32:33], v[60:61], s[36:37]
	s_mov_b32 s37, 0x3e903f40
	v_pk_fma_f32 v[34:35], v[50:51], s[22:23], v[32:33]
	v_pk_fma_f32 v[98:99], v[50:51], s[22:23], v[32:33] neg_lo:[1,0,0] neg_hi:[1,0,0]
	s_mov_b32 s44, s37
	v_mov_b32_e32 v98, v34
	v_pk_add_f32 v[98:99], v[24:25], v[98:99]
	s_mov_b32 s36, s31
	v_pk_add_f32 v[98:99], v[104:105], v[98:99]
	v_pk_mul_f32 v[104:105], v[64:65], s[44:45]
	s_mov_b32 s47, s41
	v_pk_fma_f32 v[106:107], v[54:55], s[36:37], v[104:105]
	v_pk_fma_f32 v[108:109], v[54:55], s[36:37], v[104:105] neg_lo:[1,0,0] neg_hi:[1,0,0]
	v_pk_mul_f32 v[122:123], v[62:63], s[44:45]
	v_mov_b32_e32 v108, v106
	v_pk_add_f32 v[98:99], v[108:109], v[98:99]
	v_pk_mul_f32 v[108:109], v[66:67], s[38:39]
	s_mov_b32 s39, 0x3f0a6770
	v_pk_fma_f32 v[110:111], v[56:57], s[18:19], v[108:109]
	v_pk_fma_f32 v[112:113], v[56:57], s[18:19], v[108:109] neg_lo:[1,0,0] neg_hi:[1,0,0]
	s_mov_b32 s46, s39
	v_mov_b32_e32 v112, v110
	v_pk_add_f32 v[98:99], v[112:113], v[98:99]
	s_mov_b32 s38, s41
	v_pk_mul_f32 v[112:113], v[68:69], s[46:47]
	v_pk_fma_f32 v[124:125], v[52:53], s[36:37], v[122:123]
	v_pk_fma_f32 v[114:115], v[58:59], s[38:39], v[112:113]
	v_pk_fma_f32 v[116:117], v[58:59], s[38:39], v[112:113] neg_lo:[1,0,0] neg_hi:[1,0,0]
	v_pk_fma_f32 v[126:127], v[52:53], s[36:37], v[122:123] neg_lo:[1,0,0] neg_hi:[1,0,0]
	v_mov_b32_e32 v116, v114
	v_pk_add_f32 v[98:99], v[116:117], v[98:99]
	v_pk_mul_f32 v[116:117], v[60:61], s[42:43]
	v_mov_b32_e32 v126, v124
	v_pk_fma_f32 v[118:119], v[50:51], s[26:27], v[116:117]
	v_pk_fma_f32 v[120:121], v[50:51], s[26:27], v[116:117] neg_lo:[1,0,0] neg_hi:[1,0,0]
	v_pk_mul_f32 v[92:93], v[50:51], s[10:11]
	v_mov_b32_e32 v120, v118
	v_pk_add_f32 v[120:121], v[24:25], v[120:121]
	v_pk_add_f32 v[70:71], v[70:71], v[92:93] neg_lo:[0,1] neg_hi:[0,1]
	v_pk_add_f32 v[120:121], v[126:127], v[120:121]
	v_pk_mul_f32 v[126:127], v[64:65], s[34:35]
	v_mov_b32_e32 v73, v71
	v_pk_fma_f32 v[128:129], v[54:55], s[24:25], v[126:127]
	v_pk_fma_f32 v[130:131], v[54:55], s[24:25], v[126:127] neg_lo:[1,0,0] neg_hi:[1,0,0]
	v_pk_add_f32 v[70:71], v[24:25], v[72:73]
	v_mov_b32_e32 v130, v128
	v_pk_add_f32 v[120:121], v[130:131], v[120:121]
	v_pk_mul_f32 v[130:131], v[66:67], s[40:41]
	v_pk_mul_f32 v[92:93], v[58:59], s[24:25]
	v_pk_fma_f32 v[134:135], v[56:57], s[16:17], v[130:131]
	v_pk_fma_f32 v[136:137], v[56:57], s[16:17], v[130:131] neg_lo:[1,0,0] neg_hi:[1,0,0]
	v_pk_mul_f32 v[60:61], v[60:61], s[30:31]
	v_mov_b32_e32 v136, v134
	v_pk_add_f32 v[120:121], v[136:137], v[120:121]
	v_pk_mul_f32 v[136:137], v[68:69], s[28:29]
	v_pk_mul_f32 v[62:63], v[62:63], s[46:47]
	v_pk_fma_f32 v[138:139], v[58:59], s[10:11], v[136:137]
	v_pk_fma_f32 v[140:141], v[58:59], s[10:11], v[136:137] neg_lo:[1,0,0] neg_hi:[1,0,0]
	v_pk_mul_f32 v[64:65], v[64:65], s[28:29]
	v_mov_b32_e32 v140, v138
	v_pk_add_f32 v[120:121], v[140:141], v[120:121]
	v_pk_mul_f32 v[140:141], v[52:53], s[18:19]
	ds_write2_b64 v91, v[98:99], v[120:121] offset0:2 offset1:3
	v_pk_mul_f32 v[98:99], v[54:55], s[16:17]
	v_pk_add_f32 v[72:73], v[74:75], v[140:141] neg_lo:[0,1] neg_hi:[0,1]
	v_pk_mul_f32 v[120:121], v[56:57], s[14:15]
	v_mov_b32_e32 v77, v73
	v_pk_add_f32 v[72:73], v[78:79], v[98:99] neg_lo:[0,1] neg_hi:[0,1]
	v_pk_fma_f32 v[74:75], v[50:51], s[14:15], v[60:61] neg_lo:[1,0,0] neg_hi:[1,0,0]
	v_mov_b32_e32 v81, v73
	v_pk_add_f32 v[72:73], v[82:83], v[120:121] neg_lo:[0,1] neg_hi:[0,1]
	v_pk_add_f32 v[70:71], v[76:77], v[70:71]
	v_mov_b32_e32 v85, v73
	v_pk_add_f32 v[72:73], v[86:87], v[92:93] neg_lo:[0,1] neg_hi:[0,1]
	v_pk_fma_f32 v[76:77], v[52:53], s[38:39], v[62:63]
	v_mov_b32_e32 v89, v73
	v_pk_fma_f32 v[72:73], v[50:51], s[14:15], v[60:61]
	v_pk_fma_f32 v[60:61], v[50:51], s[14:15], v[60:61] neg_lo:[0,0,1] neg_hi:[0,0,1]
	v_mov_b32_e32 v74, v72
	v_pk_fma_f32 v[78:79], v[52:53], s[38:39], v[62:63] neg_lo:[1,0,0] neg_hi:[1,0,0]
	v_mov_b32_e32 v61, v73
	v_pk_fma_f32 v[62:63], v[52:53], s[38:39], v[62:63] neg_lo:[0,0,1] neg_hi:[0,0,1]
	v_pk_add_f32 v[74:75], v[24:25], v[74:75]
	v_mov_b32_e32 v78, v76
	v_pk_add_f32 v[60:61], v[24:25], v[60:61]
	v_mov_b32_e32 v63, v77
	v_pk_add_f32 v[70:71], v[80:81], v[70:71]
	v_pk_add_f32 v[74:75], v[78:79], v[74:75]
	v_pk_fma_f32 v[78:79], v[54:55], s[10:11], v[64:65]
	v_pk_fma_f32 v[80:81], v[54:55], s[10:11], v[64:65] neg_lo:[1,0,0] neg_hi:[1,0,0]
	v_pk_add_f32 v[60:61], v[62:63], v[60:61]
	v_pk_fma_f32 v[62:63], v[54:55], s[10:11], v[64:65] neg_lo:[0,0,1] neg_hi:[0,0,1]
	v_pk_mul_f32 v[66:67], v[66:67], s[34:35]
	v_mov_b32_e32 v80, v78
	v_mov_b32_e32 v63, v79
	v_pk_add_f32 v[74:75], v[80:81], v[74:75]
	v_pk_fma_f32 v[80:81], v[56:57], s[24:25], v[66:67]
	v_pk_fma_f32 v[82:83], v[56:57], s[24:25], v[66:67] neg_lo:[1,0,0] neg_hi:[1,0,0]
	v_pk_add_f32 v[60:61], v[62:63], v[60:61]
	v_pk_fma_f32 v[62:63], v[56:57], s[24:25], v[66:67] neg_lo:[0,0,1] neg_hi:[0,0,1]
	v_pk_mul_f32 v[68:69], v[68:69], s[42:43]
	v_mov_b32_e32 v82, v80
	v_mov_b32_e32 v63, v81
	v_pk_add_f32 v[74:75], v[82:83], v[74:75]
	v_pk_fma_f32 v[82:83], v[58:59], s[26:27], v[68:69]
	v_pk_add_f32 v[60:61], v[62:63], v[60:61]
	v_pk_fma_f32 v[62:63], v[58:59], s[26:27], v[68:69] neg_lo:[0,0,1] neg_hi:[0,0,1]
	v_pk_fma_f32 v[14:15], v[50:51], s[16:17], v[14:15] neg_lo:[0,0,1] neg_hi:[0,0,1]
	v_mov_b32_e32 v63, v83
	v_pk_add_f32 v[60:61], v[62:63], v[60:61]
	ds_write2_b64 v91, v[60:61], v[28:29] offset0:6 offset1:7
	v_pk_fma_f32 v[60:61], v[50:51], s[26:27], v[116:117] neg_lo:[0,0,1] neg_hi:[0,0,1]
	v_pk_fma_f32 v[32:33], v[50:51], s[22:23], v[32:33] neg_lo:[0,0,1] neg_hi:[0,0,1]
	v_mov_b32_e32 v15, v13
	v_mov_b32_e32 v61, v119
	v_pk_fma_f32 v[62:63], v[52:53], s[36:37], v[122:123] neg_lo:[0,0,1] neg_hi:[0,0,1]
	v_mov_b32_e32 v33, v35
	v_pk_fma_f32 v[34:35], v[52:53], s[10:11], v[100:101] neg_lo:[0,0,1] neg_hi:[0,0,1]
	v_pk_add_f32 v[12:13], v[24:25], v[14:15]
	v_pk_fma_f32 v[14:15], v[52:53], s[22:23], v[30:31] neg_lo:[0,0,1] neg_hi:[0,0,1]
	v_pk_add_f32 v[60:61], v[24:25], v[60:61]
	v_mov_b32_e32 v63, v125
	v_pk_add_f32 v[32:33], v[24:25], v[32:33]
	v_mov_b32_e32 v35, v103
	v_mov_b32_e32 v15, v27
	v_pk_add_f32 v[60:61], v[62:63], v[60:61]
	v_pk_fma_f32 v[62:63], v[54:55], s[24:25], v[126:127] neg_lo:[0,0,1] neg_hi:[0,0,1]
	v_pk_add_f32 v[32:33], v[34:35], v[32:33]
	v_pk_fma_f32 v[34:35], v[54:55], s[36:37], v[104:105] neg_lo:[0,0,1] neg_hi:[0,0,1]
	;; [unrolled: 2-line block ×3, first 2 shown]
	v_mov_b32_e32 v63, v129
	v_mov_b32_e32 v35, v107
	;; [unrolled: 1-line block ×3, first 2 shown]
	v_pk_add_f32 v[60:61], v[62:63], v[60:61]
	v_pk_fma_f32 v[62:63], v[56:57], s[16:17], v[130:131] neg_lo:[0,0,1] neg_hi:[0,0,1]
	v_pk_add_f32 v[32:33], v[34:35], v[32:33]
	v_pk_fma_f32 v[34:35], v[56:57], s[18:19], v[108:109] neg_lo:[0,0,1] neg_hi:[0,0,1]
	;; [unrolled: 2-line block ×3, first 2 shown]
	v_mov_b32_e32 v63, v135
	v_mov_b32_e32 v35, v111
	;; [unrolled: 1-line block ×3, first 2 shown]
	v_pk_add_f32 v[70:71], v[84:85], v[70:71]
	v_pk_fma_f32 v[84:85], v[58:59], s[26:27], v[68:69] neg_lo:[1,0,0] neg_hi:[1,0,0]
	v_pk_add_f32 v[60:61], v[62:63], v[60:61]
	v_pk_fma_f32 v[62:63], v[58:59], s[10:11], v[136:137] neg_lo:[0,0,1] neg_hi:[0,0,1]
	;; [unrolled: 2-line block ×4, first 2 shown]
	v_mov_b32_e32 v84, v82
	v_mov_b32_e32 v63, v139
	;; [unrolled: 1-line block ×4, first 2 shown]
	v_pk_add_f32 v[70:71], v[88:89], v[70:71]
	v_pk_add_f32 v[74:75], v[84:85], v[74:75]
	;; [unrolled: 1-line block ×5, first 2 shown]
	ds_write2_b64 v91, v[70:71], v[74:75] offset0:4 offset1:5
	ds_write2_b64 v91, v[60:61], v[32:33] offset0:8 offset1:9
	ds_write_b64 v91, v[12:13] offset:80
.LBB0_17:
	s_or_b64 exec, exec, s[20:21]
	s_waitcnt lgkmcnt(0)
	; wave barrier
	s_waitcnt lgkmcnt(0)
	ds_read2_b64 v[12:15], v43 offset1:44
	v_mov_b32_e32 v30, v9
	ds_read2_b64 v[24:27], v43 offset0:88 offset1:132
	s_mov_b32 s14, 0x3d64c772
	s_mov_b32 s10, 0xbf955555
	s_waitcnt lgkmcnt(1)
	v_pk_mul_f32 v[30:31], v[30:31], v[14:15] op_sel:[0,1] op_sel_hi:[1,0]
	v_pk_mul_f32 v[32:33], v[8:9], v[14:15] op_sel:[0,1] op_sel_hi:[1,0]
	v_pk_fma_f32 v[30:31], v[8:9], v[14:15], v[30:31]
	s_waitcnt lgkmcnt(0)
	v_pk_mul_f32 v[36:37], v[4:5], v[26:27] op_sel:[0,1] op_sel_hi:[1,0]
	v_mov_b32_e32 v31, v32
	v_pk_fma_f32 v[14:15], v[8:9], v[14:15], v[30:31] op_sel:[0,1,0] op_sel_hi:[1,0,1] neg_lo:[1,0,0] neg_hi:[1,0,0]
	v_mov_b32_e32 v8, v11
	v_pk_mul_f32 v[8:9], v[8:9], v[24:25] op_sel:[0,1] op_sel_hi:[1,0]
	v_mov_b32_e32 v31, v36
	v_pk_fma_f32 v[32:33], v[10:11], v[24:25], v[8:9]
	v_pk_mul_f32 v[8:9], v[10:11], v[24:25] op_sel:[0,1] op_sel_hi:[1,0]
	s_mov_b32 s18, 0x3f08b237
	v_mov_b32_e32 v9, v8
	v_pk_fma_f32 v[24:25], v[10:11], v[24:25], v[8:9] op_sel:[0,1,0] op_sel_hi:[1,0,1] neg_lo:[1,0,0] neg_hi:[1,0,0]
	v_mov_b32_e32 v8, v5
	v_pk_mul_f32 v[8:9], v[8:9], v[26:27] op_sel:[0,1] op_sel_hi:[1,0]
	v_mov_b32_e32 v33, v25
	v_pk_fma_f32 v[34:35], v[4:5], v[26:27], v[8:9]
	ds_read2_b64 v[8:11], v43 offset0:176 offset1:220
	v_pk_fma_f32 v[4:5], v[4:5], v[26:27], v[30:31] op_sel:[0,1,0] op_sel_hi:[1,0,1] neg_lo:[1,0,0] neg_hi:[1,0,0]
	v_mov_b32_e32 v31, v15
	v_mov_b32_e32 v4, v7
	;; [unrolled: 1-line block ×3, first 2 shown]
	s_waitcnt lgkmcnt(0)
	v_pk_mul_f32 v[26:27], v[4:5], v[8:9] op_sel:[0,1] op_sel_hi:[1,0]
	v_pk_mul_f32 v[36:37], v[6:7], v[8:9] op_sel:[0,1] op_sel_hi:[1,0]
	v_pk_fma_f32 v[26:27], v[6:7], v[8:9], v[26:27]
	v_mov_b32_e32 v4, v1
	v_mov_b32_e32 v27, v36
	ds_read_b64 v[36:37], v43 offset:2112
	v_pk_fma_f32 v[6:7], v[6:7], v[8:9], v[26:27] op_sel:[0,1,0] op_sel_hi:[1,0,1] neg_lo:[1,0,0] neg_hi:[1,0,0]
	v_pk_mul_f32 v[8:9], v[4:5], v[10:11] op_sel:[0,1] op_sel_hi:[1,0]
	v_pk_mul_f32 v[38:39], v[0:1], v[10:11] op_sel:[0,1] op_sel_hi:[1,0]
	v_pk_fma_f32 v[8:9], v[0:1], v[10:11], v[8:9]
	v_mov_b32_e32 v27, v7
	v_mov_b32_e32 v9, v38
	v_pk_fma_f32 v[0:1], v[0:1], v[10:11], v[8:9] op_sel:[0,1,0] op_sel_hi:[1,0,1] neg_lo:[1,0,0] neg_hi:[1,0,0]
	s_waitcnt lgkmcnt(0)
	v_pk_mul_f32 v[38:39], v[2:3], v[36:37] op_sel:[0,1] op_sel_hi:[1,0]
	v_mov_b32_e32 v0, v3
	v_pk_mul_f32 v[10:11], v[0:1], v[36:37] op_sel:[0,1] op_sel_hi:[1,0]
	v_mov_b32_e32 v9, v38
	v_pk_fma_f32 v[10:11], v[2:3], v[36:37], v[10:11]
	v_pk_fma_f32 v[2:3], v[2:3], v[36:37], v[8:9] op_sel:[0,1,0] op_sel_hi:[1,0,1] neg_lo:[1,0,0] neg_hi:[1,0,0]
	v_mov_b32_e32 v9, v1
	v_mov_b32_e32 v11, v3
	v_pk_add_f32 v[2:3], v[30:31], v[10:11]
	v_pk_add_f32 v[0:1], v[32:33], v[8:9]
	;; [unrolled: 1-line block ×4, first 2 shown]
	v_pk_add_f32 v[8:9], v[32:33], v[8:9] neg_lo:[0,1] neg_hi:[0,1]
	v_pk_add_f32 v[24:25], v[0:1], v[2:3] neg_lo:[0,1] neg_hi:[0,1]
	;; [unrolled: 1-line block ×4, first 2 shown]
	v_mov_b32_e32 v32, v14
	v_mov_b32_e32 v33, v5
	;; [unrolled: 1-line block ×3, first 2 shown]
	v_pk_add_f32 v[6:7], v[26:27], v[34:35] neg_lo:[0,1] neg_hi:[0,1]
	v_pk_add_f32 v[4:5], v[32:33], v[4:5]
	v_pk_add_f32 v[10:11], v[30:31], v[10:11] neg_lo:[0,1] neg_hi:[0,1]
	v_pk_add_f32 v[26:27], v[6:7], v[8:9] op_sel:[1,1] op_sel_hi:[0,0]
	v_pk_add_f32 v[30:31], v[6:7], v[8:9] op_sel:[1,1] op_sel_hi:[0,0] neg_lo:[0,1] neg_hi:[0,1]
	v_pk_add_f32 v[14:15], v[12:13], v[4:5]
	v_pk_mul_f32 v[12:13], v[0:1], s[14:15] op_sel_hi:[1,0]
	s_mov_b32 s14, 0x3f3bfb3b
	v_pk_add_f32 v[6:7], v[10:11], v[6:7] op_sel:[1,1] op_sel_hi:[0,0] neg_lo:[0,1] neg_hi:[0,1]
	v_pk_add_f32 v[8:9], v[8:9], v[10:11] op_sel:[1,1] op_sel_hi:[0,0] neg_lo:[0,1] neg_hi:[0,1]
	v_pk_add_f32 v[10:11], v[26:27], v[10:11] op_sel:[0,1] op_sel_hi:[1,0]
	v_pk_mul_f32 v[0:1], v[24:25], s[14:15] op_sel_hi:[1,0]
	v_pk_mul_f32 v[26:27], v[30:31], s[18:19] op_sel_hi:[1,0]
	s_mov_b32 s18, 0xbf5ff5aa
	v_pk_fma_f32 v[4:5], v[4:5], s[10:11], v[14:15] op_sel_hi:[1,0,1]
	s_mov_b32 s10, 0xbf4a47b2
	s_mov_b32 s16, 0xbee1c552
	v_pk_mul_f32 v[30:31], v[8:9], s[18:19] op_sel_hi:[1,0]
	v_pk_fma_f32 v[24:25], v[24:25], s[14:15], v[12:13] op_sel_hi:[1,0,1] neg_lo:[0,0,1] neg_hi:[0,0,1]
	v_fmac_f32_e32 v13, 0x3f4a47b2, v3
	v_fma_f32 v35, v2, s10, -v0
	v_fma_f32 v3, v3, s10, -v1
	v_pk_fma_f32 v[0:1], v[8:9], s[18:19], v[26:27] op_sel_hi:[1,0,1] neg_lo:[0,0,1] neg_hi:[0,0,1]
	s_mov_b32 s10, 0x3eae86e6
	v_pk_mul_f32 v[32:33], v[10:11], s[16:17] op_sel_hi:[1,0]
	v_fmamk_f32 v34, v2, 0x3f4a47b2, v12
	v_fmamk_f32 v36, v7, 0xbeae86e6, v27
	v_fmac_f32_e32 v26, 0xbeae86e6, v6
	v_fma_f32 v37, v7, s10, -v31
	v_fma_f32 v27, v6, s10, -v30
	v_pk_add_f32 v[6:7], v[24:25], v[4:5]
	v_pk_fma_f32 v[0:1], v[10:11], s[16:17], v[0:1] op_sel_hi:[1,0,1]
	v_pk_add_f32 v[10:11], v[34:35], v[4:5] op_sel_hi:[1,0]
	v_pk_add_f32 v[8:9], v[6:7], v[0:1]
	v_pk_add_f32 v[24:25], v[32:33], v[26:27] op_sel_hi:[0,1]
	v_mov_b32_e32 v2, v13
	v_pk_add_f32 v[6:7], v[6:7], v[0:1] neg_lo:[0,1] neg_hi:[0,1]
	v_mov_b32_e32 v0, v8
	v_pk_add_f32 v[26:27], v[10:11], v[24:25] neg_lo:[0,1] neg_hi:[0,1]
	v_pk_add_f32 v[2:3], v[2:3], v[4:5] op_sel:[0,1]
	v_pk_add_f32 v[4:5], v[32:33], v[36:37] op_sel:[1,0]
	v_mov_b32_e32 v30, v10
	v_pk_add_f32 v[32:33], v[24:25], v[10:11]
	v_mov_b32_e32 v8, v25
	v_mov_b32_e32 v10, v11
	;; [unrolled: 1-line block ×3, first 2 shown]
	v_pk_add_f32 v[12:13], v[4:5], v[2:3]
	v_mov_b32_e32 v7, v2
	v_mov_b32_e32 v31, v4
	v_pk_add_f32 v[10:11], v[8:9], v[10:11]
	v_pk_add_f32 v[2:3], v[2:3], v[4:5] neg_lo:[0,1] neg_hi:[0,1]
	v_pk_add_f32 v[30:31], v[6:7], v[30:31] neg_lo:[0,1] neg_hi:[0,1]
	v_mov_b32_e32 v11, v3
	v_mov_b32_e32 v2, v27
	;; [unrolled: 1-line block ×3, first 2 shown]
	s_waitcnt lgkmcnt(0)
	; wave barrier
	v_mov_b32_e32 v33, v31
	v_mov_b32_e32 v7, v9
	ds_write2_b64 v90, v[0:1], v[2:3] offset0:44 offset1:55
	v_mov_b32_e32 v2, v26
	v_mov_b32_e32 v3, v12
	ds_write2_b64 v90, v[14:15], v[32:33] offset1:11
	ds_write2_b64 v90, v[10:11], v[6:7] offset0:22 offset1:33
	ds_write_b64 v90, v[2:3] offset:528
	s_waitcnt lgkmcnt(0)
	; wave barrier
	s_waitcnt lgkmcnt(0)
	ds_read2_b64 v[4:7], v43 offset1:77
	ds_read2_b64 v[8:11], v43 offset0:154 offset1:231
	s_and_saveexec_b64 s[10:11], s[2:3]
	s_xor_b64 s[2:3], exec, s[10:11]
	s_andn2_saveexec_b64 s[2:3], s[2:3]
	s_cbranch_execz .LBB0_19
; %bb.18:
	v_add_u32_e32 v12, 0x400, v43
	ds_read2_b64 v[0:3], v43 offset0:44 offset1:121
	ds_read2_b64 v[26:29], v12 offset0:70 offset1:147
	s_waitcnt lgkmcnt(1)
	v_mov_b32_e32 v13, v3
	s_waitcnt lgkmcnt(0)
	v_mov_b32_e32 v12, v27
	v_mov_b32_e32 v27, v2
.LBB0_19:
	s_or_b64 exec, exec, s[2:3]
	s_waitcnt lgkmcnt(1)
	v_pk_mul_f32 v[2:3], v[20:21], v[6:7] op_sel:[1,0]
	s_waitcnt lgkmcnt(0)
	v_pk_mul_f32 v[14:15], v[22:23], v[8:9] op_sel:[1,0]
	v_pk_fma_f32 v[30:31], v[20:21], v[6:7], v[2:3] op_sel:[0,0,1] op_sel_hi:[1,1,0]
	v_pk_fma_f32 v[2:3], v[20:21], v[6:7], v[2:3] op_sel:[0,0,1] op_sel_hi:[0,1,0] neg_lo:[0,0,1] neg_hi:[0,0,1]
	v_pk_mul_f32 v[24:25], v[48:49], v[10:11] op_sel:[1,0]
	v_mov_b32_e32 v31, v3
	v_pk_fma_f32 v[2:3], v[22:23], v[8:9], v[14:15] op_sel:[0,0,1] op_sel_hi:[1,1,0]
	v_pk_fma_f32 v[6:7], v[22:23], v[8:9], v[14:15] op_sel:[0,0,1] op_sel_hi:[0,1,0] neg_lo:[0,0,1] neg_hi:[0,0,1]
	v_mov_b32_e32 v3, v7
	v_pk_fma_f32 v[6:7], v[48:49], v[10:11], v[24:25] op_sel:[0,0,1] op_sel_hi:[1,1,0]
	v_pk_fma_f32 v[8:9], v[48:49], v[10:11], v[24:25] op_sel:[0,0,1] op_sel_hi:[0,1,0] neg_lo:[0,0,1] neg_hi:[0,0,1]
	v_mov_b32_e32 v7, v9
	v_pk_add_f32 v[2:3], v[4:5], v[2:3] neg_lo:[0,1] neg_hi:[0,1]
	v_pk_add_f32 v[6:7], v[30:31], v[6:7] neg_lo:[0,1] neg_hi:[0,1]
	v_pk_fma_f32 v[4:5], v[4:5], 2.0, v[2:3] op_sel_hi:[1,0,1] neg_lo:[0,0,1] neg_hi:[0,0,1]
	v_pk_fma_f32 v[8:9], v[30:31], 2.0, v[6:7] op_sel_hi:[1,0,1] neg_lo:[0,0,1] neg_hi:[0,0,1]
	v_pk_add_f32 v[10:11], v[2:3], v[6:7] op_sel:[0,1] op_sel_hi:[1,0]
	v_pk_add_f32 v[6:7], v[2:3], v[6:7] op_sel:[0,1] op_sel_hi:[1,0] neg_lo:[0,1] neg_hi:[0,1]
	v_pk_add_f32 v[8:9], v[4:5], v[8:9] neg_lo:[0,1] neg_hi:[0,1]
	v_mov_b32_e32 v11, v7
	v_pk_fma_f32 v[4:5], v[4:5], 2.0, v[8:9] op_sel_hi:[1,0,1] neg_lo:[0,0,1] neg_hi:[0,0,1]
	v_pk_fma_f32 v[2:3], v[2:3], 2.0, v[10:11] op_sel_hi:[1,0,1] neg_lo:[0,0,1] neg_hi:[0,0,1]
	ds_write2_b64 v43, v[4:5], v[2:3] offset1:77
	ds_write2_b64 v43, v[8:9], v[10:11] offset0:154 offset1:231
	s_and_saveexec_b64 s[2:3], s[0:1]
	s_cbranch_execz .LBB0_21
; %bb.20:
	v_pk_mul_f32 v[2:3], v[18:19], v[12:13] op_sel_hi:[1,0]
	v_pk_mul_f32 v[4:5], v[16:17], v[12:13] op_sel:[0,1]
	v_pk_fma_f32 v[8:9], v[18:19], v[26:27], v[2:3] op_sel:[0,0,1] op_sel_hi:[1,1,0]
	v_pk_fma_f32 v[2:3], v[18:19], v[26:27], v[2:3] op_sel:[0,0,1] op_sel_hi:[1,0,0] neg_lo:[1,0,0] neg_hi:[1,0,0]
	v_pk_mul_f32 v[6:7], v[46:47], v[28:29] op_sel:[0,1]
	v_mov_b32_e32 v9, v3
	v_pk_add_f32 v[2:3], v[0:1], v[8:9] neg_lo:[0,1] neg_hi:[0,1]
	v_pk_fma_f32 v[8:9], v[16:17], v[26:27], v[4:5] op_sel:[0,1,1] op_sel_hi:[1,1,0]
	v_pk_fma_f32 v[4:5], v[16:17], v[26:27], v[4:5] op_sel:[0,1,1] op_sel_hi:[1,1,0] neg_lo:[1,0,0] neg_hi:[1,0,0]
	v_pk_fma_f32 v[0:1], v[0:1], 2.0, v[2:3] op_sel_hi:[1,0,1] neg_lo:[0,0,1] neg_hi:[0,0,1]
	v_mov_b32_e32 v9, v5
	v_pk_fma_f32 v[4:5], v[46:47], v[28:29], v[6:7] op_sel:[0,0,1] op_sel_hi:[1,1,0]
	v_pk_fma_f32 v[6:7], v[46:47], v[28:29], v[6:7] op_sel:[0,0,1] op_sel_hi:[1,0,0] neg_lo:[1,0,0] neg_hi:[1,0,0]
	s_nop 0
	v_mov_b32_e32 v5, v7
	v_pk_add_f32 v[4:5], v[8:9], v[4:5] neg_lo:[0,1] neg_hi:[0,1]
	s_nop 0
	v_pk_fma_f32 v[6:7], v[8:9], 2.0, v[4:5] op_sel_hi:[1,0,1] neg_lo:[0,0,1] neg_hi:[0,0,1]
	v_pk_add_f32 v[8:9], v[2:3], v[4:5] op_sel:[0,1] op_sel_hi:[1,0]
	v_pk_add_f32 v[4:5], v[2:3], v[4:5] op_sel:[0,1] op_sel_hi:[1,0] neg_lo:[0,1] neg_hi:[0,1]
	v_pk_add_f32 v[6:7], v[0:1], v[6:7] neg_lo:[0,1] neg_hi:[0,1]
	v_mov_b32_e32 v9, v5
	v_pk_fma_f32 v[0:1], v[0:1], 2.0, v[6:7] op_sel_hi:[1,0,1] neg_lo:[0,0,1] neg_hi:[0,0,1]
	v_pk_fma_f32 v[2:3], v[2:3], 2.0, v[8:9] op_sel_hi:[1,0,1] neg_lo:[0,0,1] neg_hi:[0,0,1]
	ds_write2_b64 v43, v[0:1], v[2:3] offset0:44 offset1:121
	v_add_u32_e32 v0, 0x400, v43
	ds_write2_b64 v0, v[6:7], v[8:9] offset0:70 offset1:147
.LBB0_21:
	s_or_b64 exec, exec, s[2:3]
	s_waitcnt lgkmcnt(0)
	; wave barrier
	s_waitcnt lgkmcnt(0)
	s_and_b64 exec, exec, vcc
	s_cbranch_execz .LBB0_23
; %bb.22:
	global_load_dwordx2 v[8:9], v43, s[8:9]
	global_load_dwordx2 v[10:11], v43, s[8:9] offset:224
	global_load_dwordx2 v[12:13], v43, s[8:9] offset:448
	;; [unrolled: 1-line block ×4, first 2 shown]
	ds_read_b64 v[18:19], v43
	ds_read2_b64 v[0:3], v43 offset0:28 offset1:56
	ds_read2_b64 v[4:7], v43 offset0:84 offset1:112
	global_load_dwordx2 v[26:27], v43, s[8:9] offset:1120
	global_load_dwordx2 v[28:29], v43, s[8:9] offset:1344
	v_mad_u64_u32 v[22:23], s[0:1], s6, v42, 0
	v_mad_u64_u32 v[24:25], s[2:3], s4, v132, 0
	v_mov_b32_e32 v30, v23
	v_mov_b32_e32 v32, v25
	v_mad_u64_u32 v[30:31], s[6:7], s7, v42, v[30:31]
	v_mov_b32_e32 v20, s12
	v_mov_b32_e32 v21, s13
	;; [unrolled: 3-line block ×3, first 2 shown]
	v_lshl_add_u64 v[20:21], v[22:23], 3, v[20:21]
	v_mov_b32_e32 v38, 0xe0
	v_lshl_add_u64 v[22:23], v[24:25], 3, v[20:21]
	s_mul_i32 s2, s5, 0xe0
	v_mad_u64_u32 v[24:25], s[6:7], s4, v38, v[22:23]
	s_mov_b32 s0, 0x606a63be
	v_add_u32_e32 v25, s2, v25
	s_mov_b32 s1, 0x3f6a98ef
	v_mad_u64_u32 v[30:31], s[6:7], s4, v38, v[24:25]
	v_add_u32_e32 v31, s2, v31
	v_mad_u64_u32 v[32:33], s[6:7], s4, v38, v[30:31]
	v_add_u32_e32 v33, s2, v33
	s_mul_i32 s3, s5, 0x1c0
	s_waitcnt vmcnt(6) lgkmcnt(2)
	v_mul_f32_e32 v34, v19, v9
	v_mul_f32_e32 v9, v18, v9
	v_fmac_f32_e32 v34, v18, v8
	v_fma_f32 v18, v8, v19, -v9
	global_load_dwordx2 v[8:9], v43, s[8:9] offset:1568
	s_waitcnt vmcnt(5) lgkmcnt(1)
	v_mul_f32_e32 v36, v3, v13
	v_mul_f32_e32 v13, v2, v13
	s_waitcnt vmcnt(4) lgkmcnt(0)
	v_mul_f32_e32 v37, v5, v15
	v_mul_f32_e32 v15, v4, v15
	v_fmac_f32_e32 v36, v2, v12
	v_fma_f32 v19, v12, v3, -v13
	v_fmac_f32_e32 v37, v4, v14
	v_fma_f32 v40, v14, v5, -v15
	v_cvt_f64_f32_e32 v[2:3], v18
	v_cvt_f64_f32_e32 v[12:13], v36
	;; [unrolled: 1-line block ×4, first 2 shown]
	global_load_dwordx2 v[36:37], v43, s[8:9] offset:1792
	v_mul_f32_e32 v35, v1, v11
	v_mul_f32_e32 v11, v0, v11
	v_fmac_f32_e32 v35, v0, v10
	v_fma_f32 v10, v10, v1, -v11
	v_cvt_f64_f32_e32 v[0:1], v34
	s_waitcnt vmcnt(4)
	v_mul_f32_e32 v39, v7, v17
	v_cvt_f64_f32_e32 v[4:5], v35
	v_cvt_f64_f32_e32 v[10:11], v10
	;; [unrolled: 1-line block ×3, first 2 shown]
	v_mul_f64 v[0:1], v[0:1], s[0:1]
	v_mul_f64 v[2:3], v[2:3], s[0:1]
	;; [unrolled: 1-line block ×8, first 2 shown]
	v_cvt_f32_f64_e32 v0, v[0:1]
	v_cvt_f32_f64_e32 v1, v[2:3]
	v_fmac_f32_e32 v39, v6, v16
	v_cvt_f32_f64_e32 v2, v[4:5]
	v_cvt_f32_f64_e32 v3, v[10:11]
	;; [unrolled: 1-line block ×6, first 2 shown]
	global_store_dwordx2 v[22:23], v[0:1], off
	global_store_dwordx2 v[24:25], v[2:3], off
	;; [unrolled: 1-line block ×4, first 2 shown]
	v_cvt_f64_f32_e32 v[0:1], v39
	v_mul_f64 v[0:1], v[0:1], s[0:1]
	v_cvt_f32_f64_e32 v10, v[0:1]
	v_mul_f32_e32 v0, v6, v17
	global_load_dwordx2 v[4:5], v43, s[8:9] offset:2016
	v_fma_f32 v0, v16, v7, -v0
	v_cvt_f64_f32_e32 v[0:1], v0
	v_mul_f64 v[0:1], v[0:1], s[0:1]
	v_mad_u64_u32 v[6:7], s[6:7], s4, v38, v[32:33]
	v_cvt_f32_f64_e32 v11, v[0:1]
	v_add_u32_e32 v7, s2, v7
	global_store_dwordx2 v[6:7], v[10:11], off
	global_load_dwordx2 v[10:11], v43, s[8:9] offset:2240
	ds_read2_b64 v[0:3], v43 offset0:140 offset1:168
	v_mad_u64_u32 v[6:7], s[6:7], s4, v38, v[6:7]
	v_add_u32_e32 v7, s2, v7
	v_or_b32_e32 v15, 0xe0, v132
	s_waitcnt vmcnt(10) lgkmcnt(0)
	v_mul_f32_e32 v12, v1, v27
	v_fmac_f32_e32 v12, v0, v26
	v_mul_f32_e32 v0, v0, v27
	v_fma_f32 v0, v26, v1, -v0
	v_cvt_f64_f32_e32 v[12:13], v12
	v_cvt_f64_f32_e32 v[0:1], v0
	v_mul_f64 v[12:13], v[12:13], s[0:1]
	v_mul_f64 v[0:1], v[0:1], s[0:1]
	v_cvt_f32_f64_e32 v12, v[12:13]
	v_cvt_f32_f64_e32 v13, v[0:1]
	s_waitcnt vmcnt(9)
	v_mul_f32_e32 v0, v3, v29
	v_fmac_f32_e32 v0, v2, v28
	v_cvt_f64_f32_e32 v[0:1], v0
	v_mul_f64 v[0:1], v[0:1], s[0:1]
	global_store_dwordx2 v[6:7], v[12:13], off
	v_cvt_f32_f64_e32 v12, v[0:1]
	v_mul_f32_e32 v0, v2, v29
	v_fma_f32 v0, v28, v3, -v0
	v_cvt_f64_f32_e32 v[0:1], v0
	v_mul_f64 v[0:1], v[0:1], s[0:1]
	v_cvt_f32_f64_e32 v13, v[0:1]
	ds_read2_b64 v[0:3], v43 offset0:196 offset1:224
	v_mad_u64_u32 v[6:7], s[6:7], s4, v38, v[6:7]
	v_add_u32_e32 v7, s2, v7
	global_store_dwordx2 v[6:7], v[12:13], off
	s_waitcnt vmcnt(10) lgkmcnt(0)
	v_mul_f32_e32 v12, v1, v9
	v_fmac_f32_e32 v12, v0, v8
	v_mul_f32_e32 v0, v0, v9
	v_fma_f32 v0, v8, v1, -v0
	v_cvt_f64_f32_e32 v[12:13], v12
	v_cvt_f64_f32_e32 v[0:1], v0
	v_mul_f64 v[12:13], v[12:13], s[0:1]
	v_mul_f64 v[0:1], v[0:1], s[0:1]
	v_cvt_f32_f64_e32 v12, v[12:13]
	v_cvt_f32_f64_e32 v13, v[0:1]
	s_waitcnt vmcnt(9)
	v_mul_f32_e32 v0, v3, v37
	v_fmac_f32_e32 v0, v2, v36
	v_cvt_f64_f32_e32 v[0:1], v0
	v_mul_f64 v[0:1], v[0:1], s[0:1]
	v_cvt_f32_f64_e32 v8, v[0:1]
	v_mul_f32_e32 v0, v2, v37
	v_fma_f32 v0, v36, v3, -v0
	v_cvt_f64_f32_e32 v[0:1], v0
	v_mad_u64_u32 v[6:7], s[6:7], s4, v38, v[6:7]
	v_mul_f64 v[0:1], v[0:1], s[0:1]
	v_add_u32_e32 v7, s2, v7
	v_cvt_f32_f64_e32 v9, v[0:1]
	v_add_u32_e32 v0, 0x400, v43
	global_store_dwordx2 v[6:7], v[12:13], off
	v_mad_u64_u32 v[12:13], s[6:7], s4, v15, 0
	ds_read2_b64 v[0:3], v0 offset0:124 offset1:152
	v_mov_b32_e32 v14, v13
	v_mad_u64_u32 v[14:15], s[6:7], s5, v15, v[14:15]
	v_mov_b32_e32 v13, v14
	v_lshl_add_u64 v[12:13], v[12:13], 3, v[20:21]
	global_store_dwordx2 v[12:13], v[8:9], off
	s_waitcnt vmcnt(6) lgkmcnt(0)
	v_mul_f32_e32 v8, v1, v5
	v_fmac_f32_e32 v8, v0, v4
	v_mul_f32_e32 v0, v0, v5
	v_fma_f32 v0, v4, v1, -v0
	v_cvt_f64_f32_e32 v[8:9], v8
	v_cvt_f64_f32_e32 v[0:1], v0
	v_mul_f64 v[8:9], v[8:9], s[0:1]
	v_mul_f64 v[0:1], v[0:1], s[0:1]
	v_cvt_f32_f64_e32 v8, v[8:9]
	s_waitcnt vmcnt(4)
	v_mul_f32_e32 v4, v3, v11
	v_cvt_f32_f64_e32 v9, v[0:1]
	v_mov_b32_e32 v0, 0x1c0
	v_fmac_f32_e32 v4, v2, v10
	v_mul_f32_e32 v2, v2, v11
	v_mad_u64_u32 v[0:1], s[6:7], s4, v0, v[6:7]
	v_fma_f32 v2, v10, v3, -v2
	v_add_u32_e32 v1, s3, v1
	v_cvt_f64_f32_e32 v[4:5], v4
	v_cvt_f64_f32_e32 v[2:3], v2
	global_store_dwordx2 v[0:1], v[8:9], off
	v_mul_f64 v[4:5], v[4:5], s[0:1]
	v_mul_f64 v[2:3], v[2:3], s[0:1]
	v_mad_u64_u32 v[0:1], s[0:1], s4, v38, v[0:1]
	v_cvt_f32_f64_e32 v4, v[4:5]
	v_cvt_f32_f64_e32 v5, v[2:3]
	v_add_u32_e32 v1, s2, v1
	global_store_dwordx2 v[0:1], v[4:5], off
.LBB0_23:
	s_endpgm
	.section	.rodata,"a",@progbits
	.p2align	6, 0x0
	.amdhsa_kernel bluestein_single_back_len308_dim1_sp_op_CI_CI
		.amdhsa_group_segment_fixed_size 2464
		.amdhsa_private_segment_fixed_size 0
		.amdhsa_kernarg_size 104
		.amdhsa_user_sgpr_count 2
		.amdhsa_user_sgpr_dispatch_ptr 0
		.amdhsa_user_sgpr_queue_ptr 0
		.amdhsa_user_sgpr_kernarg_segment_ptr 1
		.amdhsa_user_sgpr_dispatch_id 0
		.amdhsa_user_sgpr_kernarg_preload_length 0
		.amdhsa_user_sgpr_kernarg_preload_offset 0
		.amdhsa_user_sgpr_private_segment_size 0
		.amdhsa_uses_dynamic_stack 0
		.amdhsa_enable_private_segment 0
		.amdhsa_system_sgpr_workgroup_id_x 1
		.amdhsa_system_sgpr_workgroup_id_y 0
		.amdhsa_system_sgpr_workgroup_id_z 0
		.amdhsa_system_sgpr_workgroup_info 0
		.amdhsa_system_vgpr_workitem_id 0
		.amdhsa_next_free_vgpr 142
		.amdhsa_next_free_sgpr 48
		.amdhsa_accum_offset 144
		.amdhsa_reserve_vcc 1
		.amdhsa_float_round_mode_32 0
		.amdhsa_float_round_mode_16_64 0
		.amdhsa_float_denorm_mode_32 3
		.amdhsa_float_denorm_mode_16_64 3
		.amdhsa_dx10_clamp 1
		.amdhsa_ieee_mode 1
		.amdhsa_fp16_overflow 0
		.amdhsa_tg_split 0
		.amdhsa_exception_fp_ieee_invalid_op 0
		.amdhsa_exception_fp_denorm_src 0
		.amdhsa_exception_fp_ieee_div_zero 0
		.amdhsa_exception_fp_ieee_overflow 0
		.amdhsa_exception_fp_ieee_underflow 0
		.amdhsa_exception_fp_ieee_inexact 0
		.amdhsa_exception_int_div_zero 0
	.end_amdhsa_kernel
	.text
.Lfunc_end0:
	.size	bluestein_single_back_len308_dim1_sp_op_CI_CI, .Lfunc_end0-bluestein_single_back_len308_dim1_sp_op_CI_CI
                                        ; -- End function
	.section	.AMDGPU.csdata,"",@progbits
; Kernel info:
; codeLenInByte = 9196
; NumSgprs: 54
; NumVgprs: 142
; NumAgprs: 0
; TotalNumVgprs: 142
; ScratchSize: 0
; MemoryBound: 0
; FloatMode: 240
; IeeeMode: 1
; LDSByteSize: 2464 bytes/workgroup (compile time only)
; SGPRBlocks: 6
; VGPRBlocks: 17
; NumSGPRsForWavesPerEU: 54
; NumVGPRsForWavesPerEU: 142
; AccumOffset: 144
; Occupancy: 3
; WaveLimiterHint : 1
; COMPUTE_PGM_RSRC2:SCRATCH_EN: 0
; COMPUTE_PGM_RSRC2:USER_SGPR: 2
; COMPUTE_PGM_RSRC2:TRAP_HANDLER: 0
; COMPUTE_PGM_RSRC2:TGID_X_EN: 1
; COMPUTE_PGM_RSRC2:TGID_Y_EN: 0
; COMPUTE_PGM_RSRC2:TGID_Z_EN: 0
; COMPUTE_PGM_RSRC2:TIDIG_COMP_CNT: 0
; COMPUTE_PGM_RSRC3_GFX90A:ACCUM_OFFSET: 35
; COMPUTE_PGM_RSRC3_GFX90A:TG_SPLIT: 0
	.text
	.p2alignl 6, 3212836864
	.fill 256, 4, 3212836864
	.type	__hip_cuid_5d40e8ac4ed07ae0,@object ; @__hip_cuid_5d40e8ac4ed07ae0
	.section	.bss,"aw",@nobits
	.globl	__hip_cuid_5d40e8ac4ed07ae0
__hip_cuid_5d40e8ac4ed07ae0:
	.byte	0                               ; 0x0
	.size	__hip_cuid_5d40e8ac4ed07ae0, 1

	.ident	"AMD clang version 19.0.0git (https://github.com/RadeonOpenCompute/llvm-project roc-6.4.0 25133 c7fe45cf4b819c5991fe208aaa96edf142730f1d)"
	.section	".note.GNU-stack","",@progbits
	.addrsig
	.addrsig_sym __hip_cuid_5d40e8ac4ed07ae0
	.amdgpu_metadata
---
amdhsa.kernels:
  - .agpr_count:     0
    .args:
      - .actual_access:  read_only
        .address_space:  global
        .offset:         0
        .size:           8
        .value_kind:     global_buffer
      - .actual_access:  read_only
        .address_space:  global
        .offset:         8
        .size:           8
        .value_kind:     global_buffer
      - .actual_access:  read_only
        .address_space:  global
        .offset:         16
        .size:           8
        .value_kind:     global_buffer
      - .actual_access:  read_only
        .address_space:  global
        .offset:         24
        .size:           8
        .value_kind:     global_buffer
      - .actual_access:  read_only
        .address_space:  global
        .offset:         32
        .size:           8
        .value_kind:     global_buffer
      - .offset:         40
        .size:           8
        .value_kind:     by_value
      - .address_space:  global
        .offset:         48
        .size:           8
        .value_kind:     global_buffer
      - .address_space:  global
        .offset:         56
        .size:           8
        .value_kind:     global_buffer
      - .address_space:  global
        .offset:         64
        .size:           8
        .value_kind:     global_buffer
      - .address_space:  global
        .offset:         72
        .size:           8
        .value_kind:     global_buffer
      - .offset:         80
        .size:           4
        .value_kind:     by_value
      - .address_space:  global
        .offset:         88
        .size:           8
        .value_kind:     global_buffer
      - .address_space:  global
        .offset:         96
        .size:           8
        .value_kind:     global_buffer
    .group_segment_fixed_size: 2464
    .kernarg_segment_align: 8
    .kernarg_segment_size: 104
    .language:       OpenCL C
    .language_version:
      - 2
      - 0
    .max_flat_workgroup_size: 44
    .name:           bluestein_single_back_len308_dim1_sp_op_CI_CI
    .private_segment_fixed_size: 0
    .sgpr_count:     54
    .sgpr_spill_count: 0
    .symbol:         bluestein_single_back_len308_dim1_sp_op_CI_CI.kd
    .uniform_work_group_size: 1
    .uses_dynamic_stack: false
    .vgpr_count:     142
    .vgpr_spill_count: 0
    .wavefront_size: 64
amdhsa.target:   amdgcn-amd-amdhsa--gfx950
amdhsa.version:
  - 1
  - 2
...

	.end_amdgpu_metadata
